;; amdgpu-corpus repo=ROCm/rocFFT kind=compiled arch=gfx1201 opt=O3
	.text
	.amdgcn_target "amdgcn-amd-amdhsa--gfx1201"
	.amdhsa_code_object_version 6
	.protected	fft_rtc_fwd_len3200_factors_10_10_4_4_2_wgs_160_tpt_160_halfLds_sp_op_CI_CI_sbrr_dirReg ; -- Begin function fft_rtc_fwd_len3200_factors_10_10_4_4_2_wgs_160_tpt_160_halfLds_sp_op_CI_CI_sbrr_dirReg
	.globl	fft_rtc_fwd_len3200_factors_10_10_4_4_2_wgs_160_tpt_160_halfLds_sp_op_CI_CI_sbrr_dirReg
	.p2align	8
	.type	fft_rtc_fwd_len3200_factors_10_10_4_4_2_wgs_160_tpt_160_halfLds_sp_op_CI_CI_sbrr_dirReg,@function
fft_rtc_fwd_len3200_factors_10_10_4_4_2_wgs_160_tpt_160_halfLds_sp_op_CI_CI_sbrr_dirReg: ; @fft_rtc_fwd_len3200_factors_10_10_4_4_2_wgs_160_tpt_160_halfLds_sp_op_CI_CI_sbrr_dirReg
; %bb.0:
	s_clause 0x2
	s_load_b128 s[12:15], s[0:1], 0x18
	s_load_b128 s[8:11], s[0:1], 0x0
	;; [unrolled: 1-line block ×3, first 2 shown]
	v_mul_u32_u24_e32 v1, 0x19a, v0
	v_mov_b32_e32 v53, 0
	v_mov_b32_e32 v54, 0
	s_wait_kmcnt 0x0
	s_load_b64 s[18:19], s[12:13], 0x0
	s_load_b64 s[16:17], s[14:15], 0x0
	v_lshrrev_b32_e32 v2, 16, v1
	v_mov_b32_e32 v1, 0
	v_cmp_lt_u64_e64 s2, s[10:11], 2
	s_delay_alu instid0(VALU_DEP_2) | instskip(NEXT) | instid1(VALU_DEP_2)
	v_dual_mov_b32 v8, v1 :: v_dual_add_nc_u32 v7, ttmp9, v2
	s_and_b32 vcc_lo, exec_lo, s2
	s_cbranch_vccnz .LBB0_8
; %bb.1:
	s_load_b64 s[2:3], s[0:1], 0x10
	v_mov_b32_e32 v53, 0
	v_mov_b32_e32 v54, 0
	s_delay_alu instid0(VALU_DEP_2)
	v_mov_b32_e32 v3, v53
	s_add_nc_u64 s[20:21], s[14:15], 8
	s_add_nc_u64 s[22:23], s[12:13], 8
	s_mov_b64 s[24:25], 1
	v_mov_b32_e32 v4, v54
	s_wait_kmcnt 0x0
	s_add_nc_u64 s[26:27], s[2:3], 8
	s_mov_b32 s3, 0
.LBB0_2:                                ; =>This Inner Loop Header: Depth=1
	s_load_b64 s[28:29], s[26:27], 0x0
                                        ; implicit-def: $vgpr5_vgpr6
	s_mov_b32 s2, exec_lo
	s_wait_kmcnt 0x0
	v_or_b32_e32 v2, s29, v8
	s_delay_alu instid0(VALU_DEP_1)
	v_cmpx_ne_u64_e32 0, v[1:2]
	s_wait_alu 0xfffe
	s_xor_b32 s30, exec_lo, s2
	s_cbranch_execz .LBB0_4
; %bb.3:                                ;   in Loop: Header=BB0_2 Depth=1
	s_cvt_f32_u32 s2, s28
	s_cvt_f32_u32 s31, s29
	s_sub_nc_u64 s[36:37], 0, s[28:29]
	s_wait_alu 0xfffe
	s_delay_alu instid0(SALU_CYCLE_1) | instskip(SKIP_1) | instid1(SALU_CYCLE_2)
	s_fmamk_f32 s2, s31, 0x4f800000, s2
	s_wait_alu 0xfffe
	v_s_rcp_f32 s2, s2
	s_delay_alu instid0(TRANS32_DEP_1) | instskip(SKIP_1) | instid1(SALU_CYCLE_2)
	s_mul_f32 s2, s2, 0x5f7ffffc
	s_wait_alu 0xfffe
	s_mul_f32 s31, s2, 0x2f800000
	s_wait_alu 0xfffe
	s_delay_alu instid0(SALU_CYCLE_2) | instskip(SKIP_1) | instid1(SALU_CYCLE_2)
	s_trunc_f32 s31, s31
	s_wait_alu 0xfffe
	s_fmamk_f32 s2, s31, 0xcf800000, s2
	s_cvt_u32_f32 s35, s31
	s_wait_alu 0xfffe
	s_delay_alu instid0(SALU_CYCLE_1) | instskip(SKIP_1) | instid1(SALU_CYCLE_2)
	s_cvt_u32_f32 s34, s2
	s_wait_alu 0xfffe
	s_mul_u64 s[38:39], s[36:37], s[34:35]
	s_wait_alu 0xfffe
	s_mul_hi_u32 s41, s34, s39
	s_mul_i32 s40, s34, s39
	s_mul_hi_u32 s2, s34, s38
	s_mul_i32 s33, s35, s38
	s_wait_alu 0xfffe
	s_add_nc_u64 s[40:41], s[2:3], s[40:41]
	s_mul_hi_u32 s31, s35, s38
	s_mul_hi_u32 s42, s35, s39
	s_add_co_u32 s2, s40, s33
	s_wait_alu 0xfffe
	s_add_co_ci_u32 s2, s41, s31
	s_mul_i32 s38, s35, s39
	s_add_co_ci_u32 s39, s42, 0
	s_wait_alu 0xfffe
	s_add_nc_u64 s[38:39], s[2:3], s[38:39]
	s_wait_alu 0xfffe
	v_add_co_u32 v2, s2, s34, s38
	s_delay_alu instid0(VALU_DEP_1) | instskip(SKIP_1) | instid1(VALU_DEP_1)
	s_cmp_lg_u32 s2, 0
	s_add_co_ci_u32 s35, s35, s39
	v_readfirstlane_b32 s34, v2
	s_wait_alu 0xfffe
	s_delay_alu instid0(VALU_DEP_1)
	s_mul_u64 s[36:37], s[36:37], s[34:35]
	s_wait_alu 0xfffe
	s_mul_hi_u32 s39, s34, s37
	s_mul_i32 s38, s34, s37
	s_mul_hi_u32 s2, s34, s36
	s_mul_i32 s33, s35, s36
	s_wait_alu 0xfffe
	s_add_nc_u64 s[38:39], s[2:3], s[38:39]
	s_mul_hi_u32 s31, s35, s36
	s_mul_hi_u32 s34, s35, s37
	s_wait_alu 0xfffe
	s_add_co_u32 s2, s38, s33
	s_add_co_ci_u32 s2, s39, s31
	s_mul_i32 s36, s35, s37
	s_add_co_ci_u32 s37, s34, 0
	s_wait_alu 0xfffe
	s_add_nc_u64 s[36:37], s[2:3], s[36:37]
	s_wait_alu 0xfffe
	v_add_co_u32 v2, s2, v2, s36
	s_delay_alu instid0(VALU_DEP_1) | instskip(SKIP_1) | instid1(VALU_DEP_1)
	s_cmp_lg_u32 s2, 0
	s_add_co_ci_u32 s2, s35, s37
	v_mul_hi_u32 v13, v7, v2
	s_wait_alu 0xfffe
	v_mad_co_u64_u32 v[5:6], null, v7, s2, 0
	v_mad_co_u64_u32 v[9:10], null, v8, v2, 0
	;; [unrolled: 1-line block ×3, first 2 shown]
	s_delay_alu instid0(VALU_DEP_3) | instskip(SKIP_1) | instid1(VALU_DEP_4)
	v_add_co_u32 v2, vcc_lo, v13, v5
	s_wait_alu 0xfffd
	v_add_co_ci_u32_e32 v5, vcc_lo, 0, v6, vcc_lo
	s_delay_alu instid0(VALU_DEP_2) | instskip(SKIP_1) | instid1(VALU_DEP_2)
	v_add_co_u32 v2, vcc_lo, v2, v9
	s_wait_alu 0xfffd
	v_add_co_ci_u32_e32 v2, vcc_lo, v5, v10, vcc_lo
	s_wait_alu 0xfffd
	v_add_co_ci_u32_e32 v5, vcc_lo, 0, v12, vcc_lo
	s_delay_alu instid0(VALU_DEP_2) | instskip(SKIP_1) | instid1(VALU_DEP_2)
	v_add_co_u32 v2, vcc_lo, v2, v11
	s_wait_alu 0xfffd
	v_add_co_ci_u32_e32 v9, vcc_lo, 0, v5, vcc_lo
	s_delay_alu instid0(VALU_DEP_2) | instskip(SKIP_1) | instid1(VALU_DEP_3)
	v_mul_lo_u32 v10, s29, v2
	v_mad_co_u64_u32 v[5:6], null, s28, v2, 0
	v_mul_lo_u32 v11, s28, v9
	s_delay_alu instid0(VALU_DEP_2) | instskip(NEXT) | instid1(VALU_DEP_2)
	v_sub_co_u32 v5, vcc_lo, v7, v5
	v_add3_u32 v6, v6, v11, v10
	s_delay_alu instid0(VALU_DEP_1) | instskip(SKIP_1) | instid1(VALU_DEP_1)
	v_sub_nc_u32_e32 v10, v8, v6
	s_wait_alu 0xfffd
	v_subrev_co_ci_u32_e64 v10, s2, s29, v10, vcc_lo
	v_add_co_u32 v11, s2, v2, 2
	s_wait_alu 0xf1ff
	v_add_co_ci_u32_e64 v12, s2, 0, v9, s2
	v_sub_co_u32 v13, s2, v5, s28
	v_sub_co_ci_u32_e32 v6, vcc_lo, v8, v6, vcc_lo
	s_wait_alu 0xf1ff
	v_subrev_co_ci_u32_e64 v10, s2, 0, v10, s2
	s_delay_alu instid0(VALU_DEP_3) | instskip(NEXT) | instid1(VALU_DEP_3)
	v_cmp_le_u32_e32 vcc_lo, s28, v13
	v_cmp_eq_u32_e64 s2, s29, v6
	s_wait_alu 0xfffd
	v_cndmask_b32_e64 v13, 0, -1, vcc_lo
	v_cmp_le_u32_e32 vcc_lo, s29, v10
	s_wait_alu 0xfffd
	v_cndmask_b32_e64 v14, 0, -1, vcc_lo
	v_cmp_le_u32_e32 vcc_lo, s28, v5
	;; [unrolled: 3-line block ×3, first 2 shown]
	s_wait_alu 0xfffd
	v_cndmask_b32_e64 v15, 0, -1, vcc_lo
	v_cmp_eq_u32_e32 vcc_lo, s29, v10
	s_wait_alu 0xf1ff
	s_delay_alu instid0(VALU_DEP_2)
	v_cndmask_b32_e64 v5, v15, v5, s2
	s_wait_alu 0xfffd
	v_cndmask_b32_e32 v10, v14, v13, vcc_lo
	v_add_co_u32 v13, vcc_lo, v2, 1
	s_wait_alu 0xfffd
	v_add_co_ci_u32_e32 v14, vcc_lo, 0, v9, vcc_lo
	s_delay_alu instid0(VALU_DEP_3) | instskip(SKIP_1) | instid1(VALU_DEP_2)
	v_cmp_ne_u32_e32 vcc_lo, 0, v10
	s_wait_alu 0xfffd
	v_cndmask_b32_e32 v6, v14, v12, vcc_lo
	v_cndmask_b32_e32 v10, v13, v11, vcc_lo
	v_cmp_ne_u32_e32 vcc_lo, 0, v5
	s_wait_alu 0xfffd
	s_delay_alu instid0(VALU_DEP_3) | instskip(NEXT) | instid1(VALU_DEP_3)
	v_cndmask_b32_e32 v6, v9, v6, vcc_lo
	v_cndmask_b32_e32 v5, v2, v10, vcc_lo
.LBB0_4:                                ;   in Loop: Header=BB0_2 Depth=1
	s_wait_alu 0xfffe
	s_and_not1_saveexec_b32 s2, s30
	s_cbranch_execz .LBB0_6
; %bb.5:                                ;   in Loop: Header=BB0_2 Depth=1
	v_cvt_f32_u32_e32 v2, s28
	s_sub_co_i32 s30, 0, s28
	s_delay_alu instid0(VALU_DEP_1) | instskip(NEXT) | instid1(TRANS32_DEP_1)
	v_rcp_iflag_f32_e32 v2, v2
	v_mul_f32_e32 v2, 0x4f7ffffe, v2
	s_delay_alu instid0(VALU_DEP_1) | instskip(SKIP_1) | instid1(VALU_DEP_1)
	v_cvt_u32_f32_e32 v2, v2
	s_wait_alu 0xfffe
	v_mul_lo_u32 v5, s30, v2
	s_delay_alu instid0(VALU_DEP_1) | instskip(NEXT) | instid1(VALU_DEP_1)
	v_mul_hi_u32 v5, v2, v5
	v_add_nc_u32_e32 v2, v2, v5
	s_delay_alu instid0(VALU_DEP_1) | instskip(NEXT) | instid1(VALU_DEP_1)
	v_mul_hi_u32 v2, v7, v2
	v_mul_lo_u32 v5, v2, s28
	v_add_nc_u32_e32 v6, 1, v2
	s_delay_alu instid0(VALU_DEP_2) | instskip(NEXT) | instid1(VALU_DEP_1)
	v_sub_nc_u32_e32 v5, v7, v5
	v_subrev_nc_u32_e32 v9, s28, v5
	v_cmp_le_u32_e32 vcc_lo, s28, v5
	s_wait_alu 0xfffd
	s_delay_alu instid0(VALU_DEP_2) | instskip(NEXT) | instid1(VALU_DEP_1)
	v_dual_cndmask_b32 v5, v5, v9 :: v_dual_cndmask_b32 v2, v2, v6
	v_cmp_le_u32_e32 vcc_lo, s28, v5
	s_delay_alu instid0(VALU_DEP_2) | instskip(SKIP_1) | instid1(VALU_DEP_1)
	v_add_nc_u32_e32 v6, 1, v2
	s_wait_alu 0xfffd
	v_dual_cndmask_b32 v5, v2, v6 :: v_dual_mov_b32 v6, v1
.LBB0_6:                                ;   in Loop: Header=BB0_2 Depth=1
	s_wait_alu 0xfffe
	s_or_b32 exec_lo, exec_lo, s2
	s_delay_alu instid0(VALU_DEP_1) | instskip(NEXT) | instid1(VALU_DEP_2)
	v_mul_lo_u32 v2, v6, s28
	v_mul_lo_u32 v11, v5, s29
	s_load_b64 s[30:31], s[22:23], 0x0
	v_mad_co_u64_u32 v[9:10], null, v5, s28, 0
	s_load_b64 s[28:29], s[20:21], 0x0
	s_add_nc_u64 s[24:25], s[24:25], 1
	s_add_nc_u64 s[20:21], s[20:21], 8
	s_wait_alu 0xfffe
	v_cmp_ge_u64_e64 s2, s[24:25], s[10:11]
	s_add_nc_u64 s[22:23], s[22:23], 8
	s_add_nc_u64 s[26:27], s[26:27], 8
	v_add3_u32 v2, v10, v11, v2
	v_sub_co_u32 v7, vcc_lo, v7, v9
	s_wait_alu 0xfffd
	s_delay_alu instid0(VALU_DEP_2) | instskip(SKIP_2) | instid1(VALU_DEP_1)
	v_sub_co_ci_u32_e32 v2, vcc_lo, v8, v2, vcc_lo
	s_and_b32 vcc_lo, exec_lo, s2
	s_wait_kmcnt 0x0
	v_mul_lo_u32 v8, s30, v2
	v_mul_lo_u32 v9, s31, v7
	v_mad_co_u64_u32 v[53:54], null, s30, v7, v[53:54]
	v_mul_lo_u32 v2, s28, v2
	v_mul_lo_u32 v10, s29, v7
	v_mad_co_u64_u32 v[3:4], null, s28, v7, v[3:4]
	s_delay_alu instid0(VALU_DEP_4) | instskip(NEXT) | instid1(VALU_DEP_2)
	v_add3_u32 v54, v9, v54, v8
	v_add3_u32 v4, v10, v4, v2
	s_wait_alu 0xfffe
	s_cbranch_vccnz .LBB0_9
; %bb.7:                                ;   in Loop: Header=BB0_2 Depth=1
	v_dual_mov_b32 v8, v6 :: v_dual_mov_b32 v7, v5
	s_branch .LBB0_2
.LBB0_8:
	v_dual_mov_b32 v3, v53 :: v_dual_mov_b32 v4, v54
	s_delay_alu instid0(VALU_DEP_2)
	v_dual_mov_b32 v5, v7 :: v_dual_mov_b32 v6, v8
.LBB0_9:
	s_load_b64 s[0:1], s[0:1], 0x28
	v_mul_hi_u32 v2, 0x199999a, v0
	s_lshl_b64 s[10:11], s[10:11], 3
                                        ; implicit-def: $vgpr1
                                        ; implicit-def: $vgpr11
                                        ; implicit-def: $vgpr7
                                        ; implicit-def: $vgpr8
                                        ; implicit-def: $vgpr9
                                        ; implicit-def: $vgpr12
                                        ; implicit-def: $vgpr15
                                        ; implicit-def: $vgpr14
                                        ; implicit-def: $vgpr16
                                        ; implicit-def: $vgpr18
	s_wait_kmcnt 0x0
	v_cmp_gt_u64_e32 vcc_lo, s[0:1], v[5:6]
	v_cmp_le_u64_e64 s0, s[0:1], v[5:6]
	s_delay_alu instid0(VALU_DEP_1)
	s_and_saveexec_b32 s1, s0
	s_wait_alu 0xfffe
	s_xor_b32 s0, exec_lo, s1
; %bb.10:
	v_mul_u32_u24_e32 v1, 0xa0, v2
                                        ; implicit-def: $vgpr2
                                        ; implicit-def: $vgpr53_vgpr54
	s_delay_alu instid0(VALU_DEP_1) | instskip(NEXT) | instid1(VALU_DEP_1)
	v_sub_nc_u32_e32 v1, v0, v1
                                        ; implicit-def: $vgpr0
	v_add_nc_u32_e32 v11, 0xa0, v1
	v_add_nc_u32_e32 v7, 0x140, v1
	v_add_nc_u32_e32 v8, 0x280, v1
	v_add_nc_u32_e32 v9, 0x3c0, v1
	v_or_b32_e32 v12, 0x500, v1
	v_add_nc_u32_e32 v15, 0x320, v1
	v_add_nc_u32_e32 v14, 0x1e0, v1
	;; [unrolled: 1-line block ×4, first 2 shown]
; %bb.11:
	s_wait_alu 0xfffe
	s_or_saveexec_b32 s1, s0
	s_add_nc_u64 s[2:3], s[14:15], s[10:11]
                                        ; implicit-def: $vgpr24
                                        ; implicit-def: $vgpr26
                                        ; implicit-def: $vgpr50
                                        ; implicit-def: $vgpr55
                                        ; implicit-def: $vgpr38
                                        ; implicit-def: $vgpr57
                                        ; implicit-def: $vgpr59
                                        ; implicit-def: $vgpr52
                                        ; implicit-def: $vgpr20
                                        ; implicit-def: $vgpr42
                                        ; implicit-def: $vgpr32
                                        ; implicit-def: $vgpr44
                                        ; implicit-def: $vgpr46
                                        ; implicit-def: $vgpr30
                                        ; implicit-def: $vgpr48
                                        ; implicit-def: $vgpr28
                                        ; implicit-def: $vgpr34
                                        ; implicit-def: $vgpr22
                                        ; implicit-def: $vgpr40
                                        ; implicit-def: $vgpr36
	s_wait_alu 0xfffe
	s_xor_b32 exec_lo, exec_lo, s1
	s_cbranch_execz .LBB0_13
; %bb.12:
	s_add_nc_u64 s[10:11], s[12:13], s[10:11]
	v_mul_u32_u24_e32 v1, 0xa0, v2
	s_load_b64 s[10:11], s[10:11], 0x0
	v_lshlrev_b64_e32 v[10:11], 3, v[53:54]
	s_delay_alu instid0(VALU_DEP_2) | instskip(NEXT) | instid1(VALU_DEP_1)
	v_sub_nc_u32_e32 v1, v0, v1
	v_mad_co_u64_u32 v[13:14], null, s18, v1, 0
	v_add_nc_u32_e32 v7, 0x140, v1
	v_add_nc_u32_e32 v8, 0x280, v1
	v_or_b32_e32 v12, 0x500, v1
	s_delay_alu instid0(VALU_DEP_4) | instskip(NEXT) | instid1(VALU_DEP_3)
	v_dual_mov_b32 v0, v14 :: v_dual_add_nc_u32 v33, 0x780, v1
	v_mad_co_u64_u32 v[17:18], null, s18, v8, 0
	s_wait_kmcnt 0x0
	v_mul_lo_u32 v14, s11, v5
	v_mul_lo_u32 v25, s10, v6
	v_mad_co_u64_u32 v[19:20], null, s10, v5, 0
	v_mad_co_u64_u32 v[15:16], null, s18, v7, 0
	v_dual_mov_b32 v2, v18 :: v_dual_add_nc_u32 v9, 0x3c0, v1
	v_mad_co_u64_u32 v[23:24], null, s19, v1, v[0:1]
	s_delay_alu instid0(VALU_DEP_4) | instskip(SKIP_3) | instid1(VALU_DEP_4)
	v_add3_u32 v20, v20, v25, v14
	v_mad_co_u64_u32 v[27:28], null, s18, v12, 0
	v_mov_b32_e32 v0, v16
	v_mad_co_u64_u32 v[21:22], null, s18, v9, 0
	v_lshlrev_b64_e32 v[18:19], 3, v[19:20]
	v_mov_b32_e32 v14, v23
	s_delay_alu instid0(VALU_DEP_4) | instskip(SKIP_1) | instid1(VALU_DEP_4)
	v_mad_co_u64_u32 v[24:25], null, s19, v7, v[0:1]
	v_mad_co_u64_u32 v[29:30], null, s18, v33, 0
	v_add_co_u32 v0, s0, s4, v18
	v_mov_b32_e32 v16, v22
	v_mad_co_u64_u32 v[22:23], null, s19, v8, v[2:3]
	s_wait_alu 0xf1ff
	v_add_co_ci_u32_e64 v2, s0, s5, v19, s0
	v_add_co_u32 v53, s0, v0, v10
	v_mov_b32_e32 v0, v28
	s_wait_alu 0xf1ff
	s_delay_alu instid0(VALU_DEP_3) | instskip(SKIP_4) | instid1(VALU_DEP_2)
	v_add_co_ci_u32_e64 v67, s0, v2, v11, s0
	v_mov_b32_e32 v18, v22
	v_add_nc_u32_e32 v2, 0x640, v1
	v_mad_co_u64_u32 v[19:20], null, s19, v12, v[0:1]
	v_lshlrev_b64_e32 v[13:14], 3, v[13:14]
	v_dual_mov_b32 v28, v19 :: v_dual_add_nc_u32 v19, 0x8c0, v1
	v_mad_co_u64_u32 v[25:26], null, s19, v9, v[16:17]
	v_mov_b32_e32 v16, v24
	s_delay_alu instid0(VALU_DEP_4) | instskip(SKIP_2) | instid1(VALU_DEP_3)
	v_add_co_u32 v13, s0, v53, v13
	s_wait_alu 0xf1ff
	v_add_co_ci_u32_e64 v14, s0, v67, v14, s0
	v_lshlrev_b64_e32 v[10:11], 3, v[15:16]
	v_mov_b32_e32 v22, v25
	v_lshlrev_b64_e32 v[15:16], 3, v[17:18]
	v_mad_co_u64_u32 v[31:32], null, s18, v19, 0
	s_delay_alu instid0(VALU_DEP_3)
	v_lshlrev_b64_e32 v[17:18], 3, v[21:22]
	v_mad_co_u64_u32 v[20:21], null, s18, v2, 0
	v_add_co_u32 v10, s0, v53, v10
	s_wait_alu 0xf1ff
	v_add_co_ci_u32_e64 v11, s0, v67, v11, s0
	v_add_co_u32 v15, s0, v53, v15
	s_delay_alu instid0(VALU_DEP_4)
	v_mov_b32_e32 v0, v21
	s_wait_alu 0xf1ff
	v_add_co_ci_u32_e64 v16, s0, v67, v16, s0
	v_add_co_u32 v17, s0, v53, v17
	s_wait_alu 0xf1ff
	v_add_co_ci_u32_e64 v18, s0, v67, v18, s0
	v_mad_co_u64_u32 v[21:22], null, s19, v2, v[0:1]
	v_mov_b32_e32 v0, v30
	s_clause 0x3
	global_load_b64 v[23:24], v[13:14], off
	global_load_b64 v[25:26], v[10:11], off
	;; [unrolled: 1-line block ×4, first 2 shown]
	v_lshlrev_b64_e32 v[10:11], 3, v[27:28]
	v_or_b32_e32 v2, 0xa00, v1
	v_mad_co_u64_u32 v[13:14], null, s19, v33, v[0:1]
	v_mov_b32_e32 v0, v32
	s_delay_alu instid0(VALU_DEP_4)
	v_add_co_u32 v16, s0, v53, v10
	s_wait_alu 0xf1ff
	v_add_co_ci_u32_e64 v17, s0, v67, v11, s0
	v_lshlrev_b64_e32 v[10:11], 3, v[20:21]
	v_mov_b32_e32 v30, v13
	v_mad_co_u64_u32 v[14:15], null, s18, v2, 0
	v_mad_co_u64_u32 v[18:19], null, s19, v19, v[0:1]
	s_delay_alu instid0(VALU_DEP_4)
	v_add_co_u32 v19, s0, v53, v10
	s_wait_alu 0xf1ff
	v_add_co_ci_u32_e64 v20, s0, v67, v11, s0
	v_lshlrev_b64_e32 v[10:11], 3, v[29:30]
	v_mov_b32_e32 v0, v15
	v_dual_mov_b32 v32, v18 :: v_dual_add_nc_u32 v13, 0xb40, v1
	s_delay_alu instid0(VALU_DEP_3) | instskip(SKIP_1) | instid1(VALU_DEP_4)
	v_add_co_u32 v27, s0, v53, v10
	s_wait_alu 0xf1ff
	v_add_co_ci_u32_e64 v28, s0, v67, v11, s0
	v_add_nc_u32_e32 v11, 0xa0, v1
	v_mad_co_u64_u32 v[21:22], null, s19, v2, v[0:1]
	v_lshlrev_b64_e32 v[29:30], 3, v[31:32]
	v_mad_co_u64_u32 v[31:32], null, s18, v13, 0
	s_delay_alu instid0(VALU_DEP_4) | instskip(NEXT) | instid1(VALU_DEP_4)
	v_mad_co_u64_u32 v[33:34], null, s18, v11, 0
	v_dual_mov_b32 v15, v21 :: v_dual_add_nc_u32 v10, 0x820, v1
	s_delay_alu instid0(VALU_DEP_4) | instskip(NEXT) | instid1(VALU_DEP_4)
	v_add_co_u32 v21, s0, v53, v29
	v_mov_b32_e32 v0, v32
	s_wait_alu 0xf1ff
	v_add_co_ci_u32_e64 v22, s0, v67, v30, s0
	v_mov_b32_e32 v2, v34
	v_lshlrev_b64_e32 v[29:30], 3, v[14:15]
	v_add_nc_u32_e32 v14, 0x1e0, v1
	v_mad_co_u64_u32 v[41:42], null, s19, v13, v[0:1]
	v_add_nc_u32_e32 v13, 0x960, v1
	v_mad_co_u64_u32 v[42:43], null, s19, v11, v[2:3]
	s_delay_alu instid0(VALU_DEP_4)
	v_mad_co_u64_u32 v[43:44], null, s18, v14, 0
	v_add_nc_u32_e32 v15, 0x320, v1
	s_clause 0x3
	global_load_b64 v[54:55], v[16:17], off
	global_load_b64 v[37:38], v[19:20], off
	;; [unrolled: 1-line block ×4, first 2 shown]
	v_mov_b32_e32 v32, v41
	v_add_co_u32 v19, s0, v53, v29
	s_wait_alu 0xf1ff
	v_add_co_ci_u32_e64 v20, s0, v67, v30, s0
	v_mad_co_u64_u32 v[29:30], null, s18, v15, 0
	v_mov_b32_e32 v0, v44
	v_lshlrev_b64_e32 v[16:17], 3, v[31:32]
	v_mov_b32_e32 v34, v42
	v_add_nc_u32_e32 v2, 0x6e0, v1
	s_delay_alu instid0(VALU_DEP_4)
	v_mad_co_u64_u32 v[21:22], null, s19, v14, v[0:1]
	v_mov_b32_e32 v0, v30
	v_add_co_u32 v31, s0, v53, v16
	v_add_nc_u32_e32 v16, 0x460, v1
	s_wait_alu 0xf1ff
	v_add_co_ci_u32_e64 v32, s0, v67, v17, s0
	v_mad_co_u64_u32 v[17:18], null, s19, v15, v[0:1]
	v_lshlrev_b64_e32 v[27:28], 3, v[33:34]
	v_mad_co_u64_u32 v[33:34], null, s18, v16, 0
	v_add_nc_u32_e32 v18, 0x5a0, v1
	v_mov_b32_e32 v44, v21
	s_delay_alu instid0(VALU_DEP_4) | instskip(NEXT) | instid1(VALU_DEP_3)
	v_add_co_u32 v21, s0, v53, v27
	v_mad_co_u64_u32 v[41:42], null, s18, v18, 0
	s_wait_alu 0xf1ff
	v_add_co_ci_u32_e64 v22, s0, v67, v28, s0
	v_lshlrev_b64_e32 v[27:28], 3, v[43:44]
	v_mov_b32_e32 v0, v34
	v_mov_b32_e32 v30, v17
	s_delay_alu instid0(VALU_DEP_2)
	v_mad_co_u64_u32 v[43:44], null, s19, v16, v[0:1]
	v_mov_b32_e32 v0, v42
	v_add_co_u32 v27, s0, v53, v27
	s_wait_alu 0xf1ff
	v_add_co_ci_u32_e64 v28, s0, v67, v28, s0
	s_clause 0x3
	global_load_b64 v[58:59], v[19:20], off
	global_load_b64 v[51:52], v[31:32], off
	;; [unrolled: 1-line block ×4, first 2 shown]
	v_lshlrev_b64_e32 v[27:28], 3, v[29:30]
	v_mad_co_u64_u32 v[29:30], null, s19, v18, v[0:1]
	v_mad_co_u64_u32 v[30:31], null, s18, v2, 0
	v_mov_b32_e32 v34, v43
	v_mad_co_u64_u32 v[43:44], null, s18, v10, 0
	v_add_co_u32 v27, s0, v53, v27
	v_mov_b32_e32 v42, v29
	v_mov_b32_e32 v0, v31
	v_lshlrev_b64_e32 v[32:33], 3, v[33:34]
	s_wait_alu 0xf1ff
	v_add_co_ci_u32_e64 v28, s0, v67, v28, s0
	v_lshlrev_b64_e32 v[41:42], 3, v[41:42]
	v_mad_co_u64_u32 v[45:46], null, s19, v2, v[0:1]
	v_mad_co_u64_u32 v[46:47], null, s18, v13, 0
	v_mov_b32_e32 v0, v44
	v_add_nc_u32_e32 v2, 0xaa0, v1
	v_add_co_u32 v32, s0, v53, v32
	v_mov_b32_e32 v31, v45
	s_delay_alu instid0(VALU_DEP_4)
	v_mad_co_u64_u32 v[44:45], null, s19, v10, v[0:1]
	v_add_nc_u32_e32 v10, 0xbe0, v1
	v_mad_co_u64_u32 v[60:61], null, s18, v2, 0
	v_mov_b32_e32 v0, v47
	s_wait_alu 0xf1ff
	v_add_co_ci_u32_e64 v33, s0, v67, v33, s0
	v_mad_co_u64_u32 v[62:63], null, s18, v10, 0
	s_delay_alu instid0(VALU_DEP_3) | instskip(SKIP_4) | instid1(VALU_DEP_3)
	v_mad_co_u64_u32 v[47:48], null, s19, v13, v[0:1]
	v_mov_b32_e32 v0, v61
	v_add_co_u32 v64, s0, v53, v41
	s_wait_alu 0xf1ff
	v_add_co_ci_u32_e64 v65, s0, v67, v42, s0
	v_mad_co_u64_u32 v[41:42], null, s19, v2, v[0:1]
	v_mov_b32_e32 v0, v63
	v_lshlrev_b64_e32 v[42:43], 3, v[43:44]
	v_lshlrev_b64_e32 v[29:30], 3, v[30:31]
	s_delay_alu instid0(VALU_DEP_3) | instskip(SKIP_1) | instid1(VALU_DEP_3)
	v_mad_co_u64_u32 v[44:45], null, s19, v10, v[0:1]
	v_mov_b32_e32 v61, v41
	v_add_co_u32 v29, s0, v53, v29
	v_lshlrev_b64_e32 v[45:46], 3, v[46:47]
	s_wait_alu 0xf1ff
	v_add_co_ci_u32_e64 v30, s0, v67, v30, s0
	v_mov_b32_e32 v63, v44
	v_add_co_u32 v47, s0, v53, v42
	v_lshlrev_b64_e32 v[41:42], 3, v[60:61]
	s_wait_alu 0xf1ff
	v_add_co_ci_u32_e64 v48, s0, v67, v43, s0
	v_add_co_u32 v60, s0, v53, v45
	v_lshlrev_b64_e32 v[43:44], 3, v[62:63]
	s_wait_alu 0xf1ff
	v_add_co_ci_u32_e64 v61, s0, v67, v46, s0
	v_add_co_u32 v62, s0, v53, v41
	s_wait_alu 0xf1ff
	v_add_co_ci_u32_e64 v63, s0, v67, v42, s0
	v_add_co_u32 v66, s0, v53, v43
	s_wait_alu 0xf1ff
	v_add_co_ci_u32_e64 v67, s0, v67, v44, s0
	s_clause 0x7
	global_load_b64 v[41:42], v[27:28], off
	global_load_b64 v[31:32], v[32:33], off
	;; [unrolled: 1-line block ×8, first 2 shown]
.LBB0_13:
	s_or_b32 exec_lo, exec_lo, s1
	s_wait_loadcnt 0xd
	v_dual_add_f32 v0, v54, v56 :: v_dual_sub_f32 v13, v55, v57
	v_dual_add_f32 v2, v23, v49 :: v_dual_sub_f32 v17, v49, v54
	s_wait_loadcnt 0xb
	v_dual_sub_f32 v53, v58, v56 :: v_dual_add_f32 v60, v49, v58
	v_sub_f32_e32 v10, v50, v59
	v_fma_f32 v0, -0.5, v0, v23
	v_add_f32_e32 v2, v2, v54
	v_sub_f32_e32 v62, v54, v49
	v_add_f32_e32 v17, v17, v53
	v_sub_f32_e32 v53, v56, v58
	v_dual_fmamk_f32 v61, v10, 0x3f737871, v0 :: v_dual_add_f32 v64, v55, v57
	v_dual_fmac_f32 v23, -0.5, v60 :: v_dual_fmac_f32 v0, 0xbf737871, v10
	s_delay_alu instid0(VALU_DEP_3) | instskip(NEXT) | instid1(VALU_DEP_3)
	v_add_f32_e32 v53, v62, v53
	v_dual_add_f32 v2, v2, v56 :: v_dual_fmac_f32 v61, 0x3f167918, v13
	s_delay_alu instid0(VALU_DEP_3) | instskip(NEXT) | instid1(VALU_DEP_4)
	v_dual_fmamk_f32 v60, v13, 0xbf737871, v23 :: v_dual_add_f32 v63, v24, v50
	v_fmac_f32_e32 v0, 0xbf167918, v13
	s_delay_alu instid0(VALU_DEP_3) | instskip(NEXT) | instid1(VALU_DEP_3)
	v_dual_add_f32 v2, v2, v58 :: v_dual_fmac_f32 v61, 0x3e9e377a, v17
	v_fmac_f32_e32 v60, 0x3f167918, v10
	v_dual_fmac_f32 v23, 0x3f737871, v13 :: v_dual_sub_f32 v54, v54, v56
	v_add_f32_e32 v13, v63, v55
	v_fma_f32 v62, -0.5, v64, v24
	v_dual_sub_f32 v49, v49, v58 :: v_dual_fmac_f32 v0, 0x3e9e377a, v17
	v_add_f32_e32 v17, v50, v59
	s_delay_alu instid0(VALU_DEP_4) | instskip(NEXT) | instid1(VALU_DEP_3)
	v_dual_fmac_f32 v23, 0xbf167918, v10 :: v_dual_add_f32 v10, v13, v57
	v_dual_fmamk_f32 v13, v49, 0xbf737871, v62 :: v_dual_sub_f32 v56, v50, v55
	v_sub_f32_e32 v58, v59, v57
	s_delay_alu instid0(VALU_DEP_4) | instskip(NEXT) | instid1(VALU_DEP_4)
	v_fmac_f32_e32 v24, -0.5, v17
	v_dual_fmac_f32 v23, 0x3e9e377a, v53 :: v_dual_add_f32 v10, v10, v59
	s_delay_alu instid0(VALU_DEP_4) | instskip(NEXT) | instid1(VALU_DEP_4)
	v_fmac_f32_e32 v13, 0xbf167918, v54
	v_dual_fmac_f32 v60, 0x3e9e377a, v53 :: v_dual_add_f32 v17, v56, v58
	v_fmac_f32_e32 v62, 0x3f737871, v49
	v_dual_sub_f32 v50, v55, v50 :: v_dual_sub_f32 v53, v57, v59
	v_dual_fmamk_f32 v58, v54, 0x3f737871, v24 :: v_dual_add_f32 v55, v37, v39
	s_delay_alu instid0(VALU_DEP_4) | instskip(NEXT) | instid1(VALU_DEP_4)
	v_fmac_f32_e32 v13, 0x3e9e377a, v17
	v_fmac_f32_e32 v62, 0x3f167918, v54
	s_wait_loadcnt 0xa
	v_dual_fmac_f32 v24, 0xbf737871, v54 :: v_dual_add_f32 v59, v51, v35
	v_fma_f32 v54, -0.5, v55, v25
	v_dual_sub_f32 v55, v36, v52 :: v_dual_add_f32 v50, v50, v53
	v_dual_add_f32 v53, v25, v35 :: v_dual_fmac_f32 v58, 0xbf167918, v49
	v_dual_fmac_f32 v62, 0x3e9e377a, v17 :: v_dual_sub_f32 v57, v51, v39
	v_sub_f32_e32 v56, v35, v37
	s_delay_alu instid0(VALU_DEP_3) | instskip(SKIP_3) | instid1(VALU_DEP_4)
	v_add_f32_e32 v17, v37, v53
	v_dual_fmac_f32 v24, 0x3f167918, v49 :: v_dual_fmac_f32 v25, -0.5, v59
	v_fmamk_f32 v49, v55, 0x3f737871, v54
	v_dual_sub_f32 v53, v38, v40 :: v_dual_fmac_f32 v58, 0x3e9e377a, v50
	v_dual_fmac_f32 v54, 0xbf737871, v55 :: v_dual_add_f32 v17, v39, v17
	s_delay_alu instid0(VALU_DEP_2) | instskip(SKIP_1) | instid1(VALU_DEP_3)
	v_dual_add_f32 v56, v57, v56 :: v_dual_fmac_f32 v49, 0x3f167918, v53
	v_fmac_f32_e32 v24, 0x3e9e377a, v50
	v_dual_fmac_f32 v54, 0xbf167918, v53 :: v_dual_sub_f32 v59, v39, v51
	v_sub_f32_e32 v57, v37, v35
	v_dual_fmamk_f32 v50, v53, 0xbf737871, v25 :: v_dual_add_f32 v17, v51, v17
	s_delay_alu instid0(VALU_DEP_3) | instskip(SKIP_1) | instid1(VALU_DEP_3)
	v_dual_fmac_f32 v54, 0x3e9e377a, v56 :: v_dual_sub_f32 v35, v35, v51
	v_fmac_f32_e32 v25, 0x3f737871, v53
	v_dual_add_f32 v51, v59, v57 :: v_dual_fmac_f32 v50, 0x3f167918, v55
	v_fmac_f32_e32 v49, 0x3e9e377a, v56
	s_delay_alu instid0(VALU_DEP_3) | instskip(SKIP_3) | instid1(VALU_DEP_4)
	v_dual_add_f32 v56, v38, v40 :: v_dual_fmac_f32 v25, 0xbf167918, v55
	v_add_f32_e32 v55, v26, v36
	v_sub_f32_e32 v37, v37, v39
	v_fmac_f32_e32 v50, 0x3e9e377a, v51
	v_fma_f32 v53, -0.5, v56, v26
	v_dual_add_f32 v56, v52, v36 :: v_dual_fmac_f32 v25, 0x3e9e377a, v51
	v_mul_f32_e32 v65, 0xbf167918, v49
	s_load_b64 s[2:3], s[2:3], 0x0
	s_delay_alu instid0(VALU_DEP_2) | instskip(SKIP_2) | instid1(VALU_DEP_3)
	v_dual_fmamk_f32 v57, v35, 0xbf737871, v53 :: v_dual_fmac_f32 v26, -0.5, v56
	v_dual_sub_f32 v51, v36, v38 :: v_dual_sub_f32 v36, v38, v36
	v_dual_add_f32 v39, v38, v55 :: v_dual_sub_f32 v38, v40, v52
	v_fmamk_f32 v56, v37, 0x3f737871, v26
	v_dual_fmac_f32 v26, 0xbf737871, v37 :: v_dual_sub_f32 v55, v52, v40
	s_delay_alu instid0(VALU_DEP_3) | instskip(NEXT) | instid1(VALU_DEP_3)
	v_dual_fmac_f32 v57, 0xbf167918, v37 :: v_dual_add_f32 v36, v38, v36
	v_fmac_f32_e32 v56, 0xbf167918, v35
	s_delay_alu instid0(VALU_DEP_3) | instskip(NEXT) | instid1(VALU_DEP_4)
	v_fmac_f32_e32 v26, 0x3f167918, v35
	v_add_f32_e32 v51, v55, v51
	v_mul_f32_e32 v59, 0x3e9e377a, v50
	v_mul_f32_e32 v66, 0xbf737871, v50
	v_fmac_f32_e32 v56, 0x3e9e377a, v36
	v_fmac_f32_e32 v26, 0x3e9e377a, v36
	v_dual_mul_f32 v36, 0x3e9e377a, v25 :: v_dual_fmac_f32 v57, 0x3e9e377a, v51
	v_cmp_gt_u32_e64 s0, 0x64, v1
	s_delay_alu instid0(VALU_DEP_4) | instskip(NEXT) | instid1(VALU_DEP_3)
	v_fmac_f32_e32 v66, 0x3e9e377a, v56
	v_fma_f32 v63, 0x3f737871, v26, -v36
	s_delay_alu instid0(VALU_DEP_4) | instskip(SKIP_2) | instid1(VALU_DEP_4)
	v_fmac_f32_e32 v65, 0x3f4f1bbd, v57
	v_fmac_f32_e32 v53, 0x3f737871, v35
	v_dual_add_f32 v35, v40, v39 :: v_dual_mul_f32 v26, 0x3e9e377a, v26
	v_dual_mul_f32 v55, 0x3f167918, v57 :: v_dual_add_f32 v38, v23, v63
	s_delay_alu instid0(VALU_DEP_2) | instskip(NEXT) | instid1(VALU_DEP_3)
	v_dual_add_f32 v52, v52, v35 :: v_dual_add_f32 v35, v2, v17
	v_fma_f32 v67, 0xbf737871, v25, -v26
	v_add_f32_e32 v26, v13, v65
	v_fmac_f32_e32 v53, 0x3f167918, v37
	v_fmac_f32_e32 v55, 0x3f4f1bbd, v49
	s_delay_alu instid0(VALU_DEP_4) | instskip(SKIP_1) | instid1(VALU_DEP_4)
	v_dual_add_f32 v25, v10, v52 :: v_dual_add_f32 v50, v24, v67
	v_fmac_f32_e32 v59, 0x3f737871, v56
	v_fmac_f32_e32 v53, 0x3e9e377a, v51
	s_delay_alu instid0(VALU_DEP_4) | instskip(SKIP_1) | instid1(VALU_DEP_3)
	v_dual_mul_f32 v39, 0x3f4f1bbd, v54 :: v_dual_add_f32 v36, v61, v55
	v_add_f32_e32 v49, v58, v66
	v_dual_add_f32 v37, v60, v59 :: v_dual_mul_f32 v40, 0x3f4f1bbd, v53
	s_delay_alu instid0(VALU_DEP_3) | instskip(SKIP_2) | instid1(VALU_DEP_3)
	v_fma_f32 v64, 0x3f167918, v53, -v39
	v_dual_sub_f32 v53, v61, v55 :: v_dual_sub_f32 v52, v10, v52
	v_dual_sub_f32 v55, v23, v63 :: v_dual_sub_f32 v58, v58, v66
	v_add_f32_e32 v39, v0, v64
	v_fma_f32 v68, 0xbf167918, v54, -v40
	v_sub_f32_e32 v40, v2, v17
	s_wait_loadcnt 0x3
	v_add_f32_e32 v2, v43, v45
	v_sub_f32_e32 v56, v0, v64
	v_dual_add_f32 v0, v19, v41 :: v_dual_add_f32 v51, v62, v68
	s_wait_loadcnt 0x1
	v_sub_f32_e32 v17, v42, v48
	v_fma_f32 v2, -0.5, v2, v19
	v_sub_f32_e32 v54, v60, v59
	v_sub_f32_e32 v60, v47, v45
	v_dual_add_f32 v0, v0, v43 :: v_dual_sub_f32 v57, v13, v65
	s_delay_alu instid0(VALU_DEP_4) | instskip(NEXT) | instid1(VALU_DEP_2)
	v_dual_fmamk_f32 v10, v17, 0x3f737871, v2 :: v_dual_sub_f32 v13, v44, v46
	v_dual_sub_f32 v59, v41, v43 :: v_dual_add_f32 v0, v0, v45
	v_add_f32_e32 v61, v41, v47
	v_dual_sub_f32 v23, v24, v67 :: v_dual_fmac_f32 v2, 0xbf737871, v17
	s_delay_alu instid0(VALU_DEP_3) | instskip(NEXT) | instid1(VALU_DEP_3)
	v_dual_fmac_f32 v10, 0x3f167918, v13 :: v_dual_add_f32 v59, v59, v60
	v_dual_add_f32 v0, v0, v47 :: v_dual_fmac_f32 v19, -0.5, v61
	v_dual_sub_f32 v24, v62, v68 :: v_dual_sub_f32 v61, v43, v41
	s_delay_alu instid0(VALU_DEP_3) | instskip(SKIP_1) | instid1(VALU_DEP_4)
	v_fmac_f32_e32 v10, 0x3e9e377a, v59
	v_dual_sub_f32 v62, v45, v47 :: v_dual_add_f32 v63, v20, v42
	v_fmamk_f32 v60, v13, 0xbf737871, v19
	v_fmac_f32_e32 v2, 0xbf167918, v13
	v_dual_add_f32 v64, v44, v46 :: v_dual_fmac_f32 v19, 0x3f737871, v13
	s_delay_alu instid0(VALU_DEP_3) | instskip(SKIP_1) | instid1(VALU_DEP_3)
	v_dual_add_f32 v61, v61, v62 :: v_dual_fmac_f32 v60, 0x3f167918, v17
	v_add_f32_e32 v13, v63, v44
	v_fma_f32 v62, -0.5, v64, v20
	v_sub_f32_e32 v41, v41, v47
	v_fmac_f32_e32 v2, 0x3e9e377a, v59
	s_delay_alu instid0(VALU_DEP_4)
	v_dual_fmac_f32 v60, 0x3e9e377a, v61 :: v_dual_add_f32 v13, v13, v46
	v_add_f32_e32 v47, v42, v48
	v_fmac_f32_e32 v19, 0xbf167918, v17
	v_fmamk_f32 v17, v41, 0xbf737871, v62
	v_sub_f32_e32 v43, v43, v45
	v_dual_sub_f32 v59, v48, v46 :: v_dual_fmac_f32 v62, 0x3f737871, v41
	v_dual_sub_f32 v45, v42, v44 :: v_dual_fmac_f32 v20, -0.5, v47
	v_sub_f32_e32 v42, v44, v42
	v_sub_f32_e32 v44, v46, v48
	s_delay_alu instid0(VALU_DEP_4)
	v_fmac_f32_e32 v62, 0x3f167918, v43
	v_add_f32_e32 v46, v29, v33
	v_fmac_f32_e32 v19, 0x3e9e377a, v61
	v_add_f32_e32 v13, v13, v48
	v_fmac_f32_e32 v17, 0xbf167918, v43
	v_dual_fmamk_f32 v61, v43, 0x3f737871, v20 :: v_dual_add_f32 v42, v42, v44
	v_fmac_f32_e32 v20, 0xbf737871, v43
	v_fma_f32 v44, -0.5, v46, v21
	s_wait_loadcnt 0x0
	v_dual_sub_f32 v46, v32, v28 :: v_dual_add_f32 v43, v31, v21
	s_delay_alu instid0(VALU_DEP_3) | instskip(SKIP_2) | instid1(VALU_DEP_4)
	v_dual_add_f32 v45, v45, v59 :: v_dual_fmac_f32 v20, 0x3f167918, v41
	v_fmac_f32_e32 v61, 0xbf167918, v41
	v_sub_f32_e32 v47, v31, v33
	v_dual_add_f32 v41, v33, v43 :: v_dual_sub_f32 v48, v27, v29
	s_delay_alu instid0(VALU_DEP_4) | instskip(SKIP_1) | instid1(VALU_DEP_3)
	v_dual_fmac_f32 v17, 0x3e9e377a, v45 :: v_dual_fmac_f32 v20, 0x3e9e377a, v42
	v_fmac_f32_e32 v62, 0x3e9e377a, v45
	v_add_f32_e32 v41, v29, v41
	v_fmamk_f32 v43, v46, 0x3f737871, v44
	v_dual_fmac_f32 v44, 0xbf737871, v46 :: v_dual_add_f32 v47, v48, v47
	v_sub_f32_e32 v45, v34, v30
	v_add_f32_e32 v59, v31, v27
	v_add_f32_e32 v48, v27, v41
	s_delay_alu instid0(VALU_DEP_2) | instskip(SKIP_2) | instid1(VALU_DEP_3)
	v_dual_fmac_f32 v44, 0xbf167918, v45 :: v_dual_fmac_f32 v21, -0.5, v59
	v_sub_f32_e32 v59, v29, v27
	v_sub_f32_e32 v27, v31, v27
	v_dual_sub_f32 v29, v33, v29 :: v_dual_fmac_f32 v44, 0x3e9e377a, v47
	s_delay_alu instid0(VALU_DEP_4) | instskip(SKIP_3) | instid1(VALU_DEP_4)
	v_fmamk_f32 v41, v45, 0xbf737871, v21
	v_fmac_f32_e32 v21, 0x3f737871, v45
	v_fmac_f32_e32 v43, 0x3f167918, v45
	v_add_f32_e32 v45, v32, v22
	v_fmac_f32_e32 v41, 0x3f167918, v46
	s_delay_alu instid0(VALU_DEP_4) | instskip(SKIP_2) | instid1(VALU_DEP_1)
	v_dual_fmac_f32 v21, 0xbf167918, v46 :: v_dual_add_f32 v46, v32, v28
	v_fmac_f32_e32 v61, 0x3e9e377a, v42
	v_add_f32_e32 v42, v30, v34
	v_fma_f32 v42, -0.5, v42, v22
	s_delay_alu instid0(VALU_DEP_4) | instskip(NEXT) | instid1(VALU_DEP_1)
	v_fmac_f32_e32 v22, -0.5, v46
	v_fmamk_f32 v46, v29, 0x3f737871, v22
	v_fmac_f32_e32 v43, 0x3e9e377a, v47
	v_dual_sub_f32 v47, v33, v31 :: v_dual_fmac_f32 v22, 0xbf737871, v29
	v_dual_sub_f32 v33, v32, v34 :: v_dual_sub_f32 v32, v34, v32
	s_delay_alu instid0(VALU_DEP_2) | instskip(NEXT) | instid1(VALU_DEP_3)
	v_add_f32_e32 v31, v59, v47
	v_fmac_f32_e32 v22, 0x3f167918, v27
	s_delay_alu instid0(VALU_DEP_2) | instskip(SKIP_3) | instid1(VALU_DEP_4)
	v_fmac_f32_e32 v41, 0x3e9e377a, v31
	v_fmac_f32_e32 v21, 0x3e9e377a, v31
	v_add_f32_e32 v31, v34, v45
	v_dual_sub_f32 v34, v30, v28 :: v_dual_sub_f32 v45, v28, v30
	v_mul_f32_e32 v66, 0xbf737871, v41
	s_delay_alu instid0(VALU_DEP_2) | instskip(SKIP_2) | instid1(VALU_DEP_3)
	v_add_f32_e32 v32, v34, v32
	v_mul_f32_e32 v34, 0x3f4f1bbd, v43
	v_mul_f32_e32 v65, 0xbf167918, v43
	v_fmac_f32_e32 v22, 0x3e9e377a, v32
	v_fmamk_f32 v47, v27, 0xbf737871, v42
	v_fmac_f32_e32 v46, 0xbf167918, v27
	v_fmac_f32_e32 v42, 0x3f737871, v27
	s_delay_alu instid0(VALU_DEP_3) | instskip(NEXT) | instid1(VALU_DEP_3)
	v_fmac_f32_e32 v47, 0xbf167918, v29
	v_dual_fmac_f32 v46, 0x3e9e377a, v32 :: v_dual_add_f32 v33, v45, v33
	s_delay_alu instid0(VALU_DEP_1) | instskip(NEXT) | instid1(VALU_DEP_1)
	v_dual_fmac_f32 v66, 0x3e9e377a, v46 :: v_dual_fmac_f32 v47, 0x3e9e377a, v33
	v_fmac_f32_e32 v34, 0x3f167918, v47
	v_fmac_f32_e32 v42, 0x3f167918, v29
	v_mul_f32_e32 v29, 0x3e9e377a, v21
	s_delay_alu instid0(VALU_DEP_2) | instskip(NEXT) | instid1(VALU_DEP_2)
	v_dual_sub_f32 v45, v10, v34 :: v_dual_fmac_f32 v42, 0x3e9e377a, v33
	v_fma_f32 v33, 0x3f737871, v22, -v29
	v_mul_f32_e32 v22, 0x3e9e377a, v22
	s_delay_alu instid0(VALU_DEP_3) | instskip(NEXT) | instid1(VALU_DEP_3)
	v_dual_mul_f32 v32, 0x3f4f1bbd, v42 :: v_dual_add_f32 v27, v30, v31
	v_dual_mul_f32 v31, 0x3f4f1bbd, v44 :: v_dual_add_f32 v30, v19, v33
	s_delay_alu instid0(VALU_DEP_3) | instskip(NEXT) | instid1(VALU_DEP_3)
	v_fma_f32 v67, 0xbf737871, v21, -v22
	v_fma_f32 v68, 0xbf167918, v44, -v32
	v_sub_f32_e32 v32, v0, v48
	v_add_f32_e32 v63, v28, v27
	v_add_f32_e32 v27, v0, v48
	v_mul_u32_u24_e32 v0, 10, v1
	v_mul_f32_e32 v59, 0x3e9e377a, v41
	v_fma_f32 v64, 0x3f167918, v42, -v31
	v_sub_f32_e32 v44, v13, v63
	v_add_f32_e32 v28, v10, v34
	v_lshl_add_u32 v71, v0, 2, 0
	v_fmac_f32_e32 v59, 0x3f737871, v46
	v_add_f32_e32 v31, v2, v64
	v_sub_f32_e32 v48, v2, v64
	v_mul_i32_i24_e32 v2, 10, v11
	v_mad_i32_i24 v0, 0xffffffdc, v1, v71
	v_add_f32_e32 v29, v60, v59
	v_sub_f32_e32 v46, v60, v59
	v_fmac_f32_e32 v65, 0x3f4f1bbd, v47
	v_lshl_add_u32 v34, v2, 2, 0
	v_sub_f32_e32 v47, v19, v33
	v_and_b32_e32 v2, 0xff, v1
	ds_store_2addr_b64 v71, v[35:36], v[37:38] offset1:1
	ds_store_2addr_b64 v71, v[39:40], v[53:54] offset0:2 offset1:3
	ds_store_b64 v71, v[55:56] offset:32
	ds_store_2addr_b64 v34, v[27:28], v[29:30] offset1:1
	ds_store_2addr_b64 v34, v[31:32], v[45:46] offset0:2 offset1:3
	ds_store_b64 v34, v[47:48] offset:32
	v_add_nc_u32_e32 v30, 0x1800, v0
	global_wb scope:SCOPE_SE
	s_wait_dscnt 0x0
	s_wait_kmcnt 0x0
	s_barrier_signal -1
	s_barrier_wait -1
	global_inv scope:SCOPE_SE
	ds_load_2addr_b32 v[53:54], v30 offset0:64 offset1:224
	v_add_nc_u32_e32 v73, 0x1e00, v0
	v_add_nc_u32_e32 v77, 0x2200, v0
	v_mul_lo_u16 v2, 0xcd, v2
	v_add_nc_u32_e32 v79, 0x2800, v0
	v_and_b32_e32 v27, 0xffff, v11
	v_dual_add_f32 v41, v61, v66 :: v_dual_add_f32 v42, v20, v67
	v_dual_add_f32 v43, v62, v68 :: v_dual_sub_f32 v60, v61, v66
	v_dual_sub_f32 v19, v20, v67 :: v_dual_sub_f32 v20, v62, v68
	v_lshl_add_u32 v33, v7, 2, 0
	ds_load_2addr_b32 v[55:56], v73 offset1:160
	ds_load_2addr_b32 v[61:62], v77 offset0:64 offset1:224
	v_add_nc_u32_e32 v81, 0x2c00, v0
	v_lshl_add_u32 v31, v8, 2, 0
	v_lshl_add_u32 v32, v9, 2, 0
	v_lshrrev_b16 v10, 11, v2
	v_lshl_add_u32 v35, v12, 2, 0
	v_add_f32_e32 v21, v13, v63
	v_add_f32_e32 v22, v17, v65
	v_sub_f32_e32 v59, v17, v65
	ds_load_2addr_b32 v[63:64], v79 offset1:160
	ds_load_2addr_b32 v[65:66], v81 offset0:64 offset1:224
	v_mad_i32_i24 v2, 0xffffffdc, v11, v34
	v_add_nc_u32_e32 v75, 0x80, v0
	ds_load_b32 v82, v0
	ds_load_b32 v72, v33
	;; [unrolled: 1-line block ×6, first 2 shown]
	ds_load_2addr_stride64_b32 v[67:68], v75 offset0:7 offset1:12
	ds_load_2addr_stride64_b32 v[69:70], v75 offset0:17 offset1:22
	global_wb scope:SCOPE_SE
	s_wait_dscnt 0x0
	s_barrier_signal -1
	s_barrier_wait -1
	global_inv scope:SCOPE_SE
	ds_store_2addr_b64 v71, v[25:26], v[49:50] offset1:1
	ds_store_2addr_b64 v71, v[51:52], v[57:58] offset0:2 offset1:3
	ds_store_b64 v71, v[23:24] offset:32
	v_mul_u32_u24_e32 v24, 0xcccd, v27
	v_mul_lo_u16 v17, v10, 10
	ds_store_2addr_b64 v34, v[21:22], v[41:42] offset1:1
	ds_store_2addr_b64 v34, v[43:44], v[59:60] offset0:2 offset1:3
	ds_store_b64 v34, v[19:20] offset:32
	global_wb scope:SCOPE_SE
	s_wait_dscnt 0x0
	s_barrier_signal -1
	v_lshrrev_b32_e32 v19, 19, v24
	v_sub_nc_u16 v17, v1, v17
	s_barrier_wait -1
	global_inv scope:SCOPE_SE
	v_and_b32_e32 v10, 0xffff, v10
	v_mul_lo_u16 v20, v19, 10
	v_and_b32_e32 v17, 0xff, v17
	s_delay_alu instid0(VALU_DEP_3) | instskip(NEXT) | instid1(VALU_DEP_3)
	v_mul_u32_u24_e32 v10, 0x190, v10
	v_sub_nc_u16 v20, v11, v20
	s_delay_alu instid0(VALU_DEP_3) | instskip(NEXT) | instid1(VALU_DEP_2)
	v_mul_u32_u24_e32 v23, 9, v17
	v_and_b32_e32 v20, 0xffff, v20
	s_delay_alu instid0(VALU_DEP_2) | instskip(NEXT) | instid1(VALU_DEP_2)
	v_lshlrev_b32_e32 v52, 3, v23
	v_mul_u32_u24_e32 v21, 9, v20
	s_clause 0x1
	global_load_b128 v[22:25], v52, s[8:9]
	global_load_b128 v[26:29], v52, s[8:9] offset:16
	v_lshlrev_b32_e32 v83, 3, v21
	s_clause 0x3
	global_load_b128 v[36:39], v83, s[8:9]
	global_load_b128 v[40:43], v52, s[8:9] offset:32
	global_load_b128 v[44:47], v83, s[8:9] offset:16
	;; [unrolled: 1-line block ×3, first 2 shown]
	ds_load_b32 v59, v33
	ds_load_b32 v71, v31
	;; [unrolled: 1-line block ×5, first 2 shown]
	ds_load_2addr_stride64_b32 v[57:58], v75 offset0:7 offset1:12
	s_wait_loadcnt_dscnt 0x505
	v_mul_f32_e32 v60, v59, v23
	v_mul_f32_e32 v85, v72, v23
	s_wait_dscnt 0x4
	v_mul_f32_e32 v23, v71, v25
	s_wait_loadcnt 0x4
	v_mul_f32_e32 v90, v78, v29
	v_mul_f32_e32 v87, v74, v25
	v_fma_f32 v86, v72, v22, -v60
	v_fma_f32 v88, v74, v24, -v23
	s_wait_dscnt 0x2
	v_mul_f32_e32 v23, v84, v29
	v_fmac_f32_e32 v90, v84, v28
	s_wait_loadcnt 0x2
	v_mul_f32_e32 v84, v53, v41
	ds_load_2addr_b32 v[73:74], v73 offset1:160
	v_fmac_f32_e32 v87, v71, v24
	global_load_b64 v[71:72], v52, s[8:9] offset:64
	v_fmac_f32_e32 v85, v59, v22
	ds_load_2addr_b32 v[59:60], v30 offset0:64 offset1:224
	v_mul_f32_e32 v22, v80, v27
	v_fma_f32 v91, v78, v28, -v23
	s_wait_dscnt 0x2
	v_dual_mul_f32 v24, v58, v39 :: v_dual_mul_f32 v23, v67, v37
	s_delay_alu instid0(VALU_DEP_3) | instskip(SKIP_1) | instid1(VALU_DEP_3)
	v_fma_f32 v89, v76, v26, -v22
	v_mul_f32_e32 v22, v57, v37
	v_fmac_f32_e32 v23, v57, v36
	v_mul_f32_e32 v57, v55, v43
	s_delay_alu instid0(VALU_DEP_3) | instskip(SKIP_4) | instid1(VALU_DEP_1)
	v_fma_f32 v22, v67, v36, -v22
	v_mul_f32_e32 v67, v68, v39
	v_fma_f32 v68, v68, v38, -v24
	s_wait_dscnt 0x0
	v_dual_mul_f32 v25, v73, v43 :: v_dual_mul_f32 v24, v59, v41
	v_fma_f32 v55, v55, v42, -v25
	v_fmac_f32_e32 v67, v58, v38
	global_load_b128 v[36:39], v83, s[8:9] offset:48
	v_mul_f32_e32 v52, v76, v27
	ds_load_2addr_stride64_b32 v[75:76], v75 offset0:17 offset1:22
	v_fma_f32 v53, v53, v40, -v24
	s_wait_loadcnt 0x3
	v_mul_f32_e32 v24, v69, v45
	ds_load_2addr_b32 v[77:78], v77 offset0:64 offset1:224
	v_fmac_f32_e32 v52, v80, v26
	v_add_f32_e32 v58, v82, v88
	v_dual_fmac_f32 v84, v59, v40 :: v_dual_lshlrev_b32 v17, 2, v17
	s_delay_alu instid0(VALU_DEP_1)
	v_add3_u32 v17, 0, v10, v17
	v_mul_u32_u24_e32 v10, 0x190, v19
	v_lshlrev_b32_e32 v19, 2, v20
	v_add_nc_u32_e32 v20, 0xffffff9c, v1
	s_wait_dscnt 0x1
	v_dual_mul_f32 v25, v75, v45 :: v_dual_mul_f32 v26, v76, v47
	v_dual_fmac_f32 v24, v75, v44 :: v_dual_mul_f32 v45, v70, v47
	s_delay_alu instid0(VALU_DEP_2) | instskip(NEXT) | instid1(VALU_DEP_3)
	v_fma_f32 v25, v69, v44, -v25
	v_fma_f32 v44, v70, v46, -v26
	s_wait_loadcnt_dscnt 0x200
	v_mul_f32_e32 v26, v77, v49
	ds_load_2addr_b32 v[79:80], v79 offset1:160
	v_dual_fmac_f32 v45, v76, v46 :: v_dual_mul_f32 v46, v61, v49
	v_fmac_f32_e32 v57, v73, v42
	v_fma_f32 v49, v61, v48, -v26
	ds_load_2addr_b32 v[42:43], v81 offset0:64 offset1:224
	v_dual_mul_f32 v47, v63, v51 :: v_dual_fmac_f32 v46, v77, v48
	global_load_b128 v[27:30], v83, s[8:9] offset:32
	v_sub_f32_e32 v61, v88, v91
	s_wait_dscnt 0x1
	v_mul_f32_e32 v40, v79, v51
	s_delay_alu instid0(VALU_DEP_1)
	v_fma_f32 v48, v63, v50, -v40
	global_load_b64 v[40:41], v83, s[8:9] offset:64
	s_wait_loadcnt 0x3
	v_dual_fmac_f32 v47, v79, v50 :: v_dual_mul_f32 v50, v65, v72
	s_wait_dscnt 0x0
	v_mul_f32_e32 v26, v42, v72
	s_delay_alu instid0(VALU_DEP_2) | instskip(NEXT) | instid1(VALU_DEP_2)
	v_fmac_f32_e32 v50, v42, v71
	v_fma_f32 v51, v65, v71, -v26
	s_wait_loadcnt 0x1
	v_mul_f32_e32 v42, v60, v28
	v_mul_f32_e32 v26, v54, v28
	s_delay_alu instid0(VALU_DEP_2) | instskip(SKIP_4) | instid1(VALU_DEP_4)
	v_fma_f32 v28, v54, v27, -v42
	v_mul_f32_e32 v42, v74, v30
	v_mul_f32_e32 v30, v56, v30
	;; [unrolled: 1-line block ×3, first 2 shown]
	v_dual_fmac_f32 v26, v60, v27 :: v_dual_mul_f32 v27, v62, v37
	v_fma_f32 v37, v56, v29, -v42
	s_delay_alu instid0(VALU_DEP_4) | instskip(NEXT) | instid1(VALU_DEP_4)
	v_fmac_f32_e32 v30, v74, v29
	v_fma_f32 v29, v62, v36, -v54
	v_mul_f32_e32 v54, v80, v39
	v_dual_sub_f32 v60, v90, v57 :: v_dual_mul_f32 v39, v64, v39
	v_sub_f32_e32 v62, v48, v55
	s_wait_loadcnt 0x0
	v_mul_f32_e32 v56, v43, v41
	v_fma_f32 v54, v64, v38, -v54
	v_mul_f32_e32 v41, v66, v41
	v_fmac_f32_e32 v39, v80, v38
	ds_load_b32 v42, v0
	v_fma_f32 v38, v66, v40, -v56
	v_dual_add_f32 v56, v58, v91 :: v_dual_fmac_f32 v41, v43, v40
	v_add_f32_e32 v64, v90, v57
	v_sub_f32_e32 v66, v53, v89
	global_wb scope:SCOPE_SE
	s_wait_dscnt 0x0
	v_add_f32_e32 v56, v56, v55
	v_sub_f32_e32 v59, v87, v47
	s_barrier_signal -1
	s_barrier_wait -1
	global_inv scope:SCOPE_SE
	v_add_f32_e32 v40, v56, v48
	v_dual_sub_f32 v56, v91, v88 :: v_dual_add_f32 v61, v61, v62
	v_add_f32_e32 v63, v88, v48
	v_dual_fmac_f32 v27, v78, v36 :: v_dual_add_f32 v36, v91, v55
	v_sub_f32_e32 v62, v55, v48
	v_sub_f32_e32 v48, v88, v48
	s_delay_alu instid0(VALU_DEP_3) | instskip(NEXT) | instid1(VALU_DEP_3)
	v_fma_f32 v36, -0.5, v36, v82
	v_add_f32_e32 v56, v56, v62
	v_fma_f32 v62, -0.5, v64, v42
	v_sub_f32_e32 v64, v47, v57
	s_delay_alu instid0(VALU_DEP_4) | instskip(SKIP_1) | instid1(VALU_DEP_2)
	v_fmamk_f32 v58, v59, 0x3f737871, v36
	v_dual_fmac_f32 v36, 0xbf737871, v59 :: v_dual_add_f32 v75, v45, v30
	v_fmac_f32_e32 v58, 0x3f167918, v60
	s_delay_alu instid0(VALU_DEP_2) | instskip(NEXT) | instid1(VALU_DEP_2)
	v_fmac_f32_e32 v36, 0xbf167918, v60
	v_fmac_f32_e32 v58, 0x3e9e377a, v61
	v_fmac_f32_e32 v82, -0.5, v63
	v_add_f32_e32 v63, v42, v87
	s_delay_alu instid0(VALU_DEP_2) | instskip(SKIP_1) | instid1(VALU_DEP_3)
	v_fmamk_f32 v43, v60, 0xbf737871, v82
	v_fmac_f32_e32 v82, 0x3f737871, v60
	v_add_f32_e32 v60, v63, v90
	v_sub_f32_e32 v63, v87, v90
	s_delay_alu instid0(VALU_DEP_4) | instskip(SKIP_1) | instid1(VALU_DEP_4)
	v_fmac_f32_e32 v43, 0x3f167918, v59
	v_fmac_f32_e32 v36, 0x3e9e377a, v61
	v_dual_fmac_f32 v82, 0xbf167918, v59 :: v_dual_add_f32 v59, v60, v57
	v_dual_fmamk_f32 v60, v48, 0xbf737871, v62 :: v_dual_add_f32 v61, v87, v47
	s_delay_alu instid0(VALU_DEP_2) | instskip(SKIP_1) | instid1(VALU_DEP_3)
	v_dual_sub_f32 v55, v91, v55 :: v_dual_fmac_f32 v82, 0x3e9e377a, v56
	v_fmac_f32_e32 v62, 0x3f737871, v48
	v_dual_fmac_f32 v43, 0x3e9e377a, v56 :: v_dual_fmac_f32 v42, -0.5, v61
	v_add_f32_e32 v56, v59, v47
	v_add_f32_e32 v59, v63, v64
	v_sub_f32_e32 v63, v90, v87
	v_sub_f32_e32 v47, v57, v47
	v_add_f32_e32 v57, v86, v89
	v_fmamk_f32 v61, v55, 0x3f737871, v42
	v_fmac_f32_e32 v60, 0xbf167918, v55
	v_fmac_f32_e32 v62, 0x3f167918, v55
	s_delay_alu instid0(VALU_DEP_4) | instskip(NEXT) | instid1(VALU_DEP_4)
	v_dual_fmac_f32 v42, 0xbf737871, v55 :: v_dual_add_f32 v55, v57, v53
	v_fmac_f32_e32 v61, 0xbf167918, v48
	s_delay_alu instid0(VALU_DEP_4) | instskip(NEXT) | instid1(VALU_DEP_4)
	v_dual_fmac_f32 v60, 0x3e9e377a, v59 :: v_dual_add_f32 v57, v53, v49
	v_dual_fmac_f32 v62, 0x3e9e377a, v59 :: v_dual_sub_f32 v59, v52, v50
	s_delay_alu instid0(VALU_DEP_4) | instskip(SKIP_1) | instid1(VALU_DEP_4)
	v_dual_add_f32 v47, v63, v47 :: v_dual_fmac_f32 v42, 0x3f167918, v48
	v_add_f32_e32 v48, v55, v49
	v_fma_f32 v55, -0.5, v57, v86
	v_dual_add_f32 v57, v89, v51 :: v_dual_sub_f32 v64, v51, v49
	s_delay_alu instid0(VALU_DEP_4) | instskip(SKIP_1) | instid1(VALU_DEP_3)
	v_fmac_f32_e32 v61, 0x3e9e377a, v47
	v_dual_sub_f32 v63, v89, v53 :: v_dual_fmac_f32 v42, 0x3e9e377a, v47
	v_dual_add_f32 v47, v48, v51 :: v_dual_fmac_f32 v86, -0.5, v57
	v_dual_sub_f32 v48, v84, v46 :: v_dual_fmamk_f32 v57, v59, 0x3f737871, v55
	v_sub_f32_e32 v69, v49, v51
	s_delay_alu instid0(VALU_DEP_4) | instskip(NEXT) | instid1(VALU_DEP_3)
	v_add_f32_e32 v63, v63, v64
	v_fmamk_f32 v65, v48, 0xbf737871, v86
	v_fmac_f32_e32 v86, 0x3f737871, v48
	s_delay_alu instid0(VALU_DEP_4) | instskip(SKIP_1) | instid1(VALU_DEP_4)
	v_dual_fmac_f32 v55, 0xbf737871, v59 :: v_dual_add_f32 v64, v66, v69
	v_fmac_f32_e32 v57, 0x3f167918, v48
	v_fmac_f32_e32 v65, 0x3f167918, v59
	s_delay_alu instid0(VALU_DEP_3) | instskip(NEXT) | instid1(VALU_DEP_3)
	v_dual_fmac_f32 v86, 0xbf167918, v59 :: v_dual_fmac_f32 v55, 0xbf167918, v48
	v_dual_add_f32 v48, v84, v46 :: v_dual_fmac_f32 v57, 0x3e9e377a, v63
	s_delay_alu instid0(VALU_DEP_2) | instskip(NEXT) | instid1(VALU_DEP_3)
	v_dual_sub_f32 v69, v46, v50 :: v_dual_fmac_f32 v86, 0x3e9e377a, v64
	v_fmac_f32_e32 v55, 0x3e9e377a, v63
	s_delay_alu instid0(VALU_DEP_3) | instskip(SKIP_3) | instid1(VALU_DEP_2)
	v_fma_f32 v48, -0.5, v48, v85
	v_sub_f32_e32 v49, v53, v49
	v_add_f32_e32 v59, v52, v50
	v_add_f32_e32 v63, v85, v52
	v_fmac_f32_e32 v85, -0.5, v59
	v_sub_f32_e32 v59, v52, v84
	v_sub_f32_e32 v52, v84, v52
	s_delay_alu instid0(VALU_DEP_3) | instskip(NEXT) | instid1(VALU_DEP_2)
	v_fmamk_f32 v66, v49, 0x3f737871, v85
	v_dual_add_f32 v52, v52, v69 :: v_dual_sub_f32 v51, v89, v51
	s_delay_alu instid0(VALU_DEP_1) | instskip(SKIP_1) | instid1(VALU_DEP_2)
	v_dual_fmac_f32 v66, 0xbf167918, v51 :: v_dual_add_f32 v63, v63, v84
	v_dual_fmac_f32 v65, 0x3e9e377a, v64 :: v_dual_sub_f32 v64, v50, v46
	v_fmac_f32_e32 v66, 0x3e9e377a, v52
	s_delay_alu instid0(VALU_DEP_3) | instskip(SKIP_2) | instid1(VALU_DEP_3)
	v_add_f32_e32 v46, v63, v46
	v_fmamk_f32 v53, v51, 0xbf737871, v48
	v_fmac_f32_e32 v48, 0x3f737871, v51
	v_add_f32_e32 v46, v46, v50
	s_delay_alu instid0(VALU_DEP_2) | instskip(SKIP_1) | instid1(VALU_DEP_1)
	v_fmac_f32_e32 v48, 0x3f167918, v49
	v_fmac_f32_e32 v85, 0xbf737871, v49
	;; [unrolled: 1-line block ×3, first 2 shown]
	s_delay_alu instid0(VALU_DEP_1) | instskip(SKIP_1) | instid1(VALU_DEP_2)
	v_dual_fmac_f32 v85, 0x3e9e377a, v52 :: v_dual_mul_f32 v52, 0x3e9e377a, v86
	v_add_f32_e32 v59, v59, v64
	v_fma_f32 v50, 0x3f737871, v85, -v52
	v_mul_f32_e32 v52, 0x3f4f1bbd, v55
	s_delay_alu instid0(VALU_DEP_3) | instskip(NEXT) | instid1(VALU_DEP_1)
	v_fmac_f32_e32 v48, 0x3e9e377a, v59
	v_fma_f32 v52, 0x3f167918, v48, -v52
	v_mul_f32_e32 v51, 0x3f737871, v66
	v_mul_f32_e32 v48, 0x3f4f1bbd, v48
	s_delay_alu instid0(VALU_DEP_3) | instskip(NEXT) | instid1(VALU_DEP_3)
	v_add_f32_e32 v71, v36, v52
	v_dual_sub_f32 v36, v36, v52 :: v_dual_fmac_f32 v51, 0x3e9e377a, v65
	v_dual_sub_f32 v52, v67, v39 :: v_dual_fmac_f32 v53, 0xbf167918, v49
	v_mul_f32_e32 v65, 0xbf737871, v65
	v_fma_f32 v48, 0xbf167918, v55, -v48
	s_delay_alu instid0(VALU_DEP_4)
	v_add_f32_e32 v64, v43, v51
	v_sub_f32_e32 v43, v43, v51
	v_add_f32_e32 v51, v13, v68
	v_fmac_f32_e32 v65, 0x3e9e377a, v66
	v_fmac_f32_e32 v53, 0x3e9e377a, v59
	v_dual_add_f32 v59, v40, v47 :: v_dual_add_f32 v74, v62, v48
	v_add_f32_e32 v66, v56, v46
	s_delay_alu instid0(VALU_DEP_4) | instskip(NEXT) | instid1(VALU_DEP_4)
	v_add_f32_e32 v72, v61, v65
	v_dual_mul_f32 v49, 0x3f167918, v53 :: v_dual_sub_f32 v40, v40, v47
	v_sub_f32_e32 v62, v62, v48
	v_dual_mul_f32 v70, 0x3e9e377a, v85 :: v_dual_sub_f32 v55, v45, v30
	s_delay_alu instid0(VALU_DEP_3) | instskip(SKIP_1) | instid1(VALU_DEP_1)
	v_fmac_f32_e32 v49, 0x3f4f1bbd, v57
	v_mul_f32_e32 v57, 0xbf167918, v57
	v_fmac_f32_e32 v57, 0x3f4f1bbd, v53
	v_add_f32_e32 v69, v82, v50
	v_sub_f32_e32 v50, v82, v50
	v_add_f32_e32 v63, v58, v49
	v_dual_sub_f32 v47, v58, v49 :: v_dual_sub_f32 v58, v56, v46
	v_add_f32_e32 v46, v51, v44
	v_fma_f32 v53, 0xbf737871, v86, -v70
	v_add_f32_e32 v70, v60, v57
	v_sub_f32_e32 v60, v60, v57
	v_sub_f32_e32 v56, v68, v44
	v_add_f32_e32 v46, v46, v37
	v_add_f32_e32 v49, v44, v37
	v_sub_f32_e32 v61, v61, v65
	v_add_f32_e32 v65, v68, v54
	v_sub_f32_e32 v57, v54, v37
	v_add_f32_e32 v46, v46, v54
	v_fma_f32 v49, -0.5, v49, v13
	ds_store_2addr_b32 v17, v59, v63 offset1:10
	v_fmac_f32_e32 v13, -0.5, v65
	v_add_f32_e32 v73, v42, v53
	v_sub_f32_e32 v42, v42, v53
	v_add_f32_e32 v53, v56, v57
	v_sub_f32_e32 v56, v44, v68
	v_dual_fmamk_f32 v48, v55, 0xbf737871, v13 :: v_dual_sub_f32 v57, v37, v54
	v_fmamk_f32 v51, v52, 0x3f737871, v49
	v_fmac_f32_e32 v49, 0xbf737871, v52
	s_delay_alu instid0(VALU_DEP_3) | instskip(NEXT) | instid1(VALU_DEP_4)
	v_dual_add_f32 v65, v21, v67 :: v_dual_fmac_f32 v48, 0x3f167918, v52
	v_add_f32_e32 v56, v56, v57
	v_sub_f32_e32 v54, v68, v54
	v_dual_sub_f32 v68, v29, v38 :: v_dual_sub_f32 v37, v44, v37
	v_sub_f32_e32 v44, v67, v45
	s_delay_alu instid0(VALU_DEP_4) | instskip(SKIP_4) | instid1(VALU_DEP_4)
	v_fmac_f32_e32 v48, 0x3e9e377a, v56
	v_fmac_f32_e32 v13, 0x3f737871, v55
	v_fmac_f32_e32 v51, 0x3f167918, v55
	v_fmac_f32_e32 v49, 0xbf167918, v55
	v_fma_f32 v57, -0.5, v75, v21
	v_fmac_f32_e32 v13, 0xbf167918, v52
	s_delay_alu instid0(VALU_DEP_1) | instskip(SKIP_2) | instid1(VALU_DEP_2)
	v_dual_fmac_f32 v13, 0x3e9e377a, v56 :: v_dual_sub_f32 v56, v38, v29
	v_add_f32_e32 v55, v65, v45
	v_sub_f32_e32 v65, v39, v30
	v_dual_sub_f32 v45, v45, v67 :: v_dual_add_f32 v52, v55, v30
	v_sub_f32_e32 v30, v30, v39
	s_delay_alu instid0(VALU_DEP_3) | instskip(NEXT) | instid1(VALU_DEP_3)
	v_add_f32_e32 v44, v44, v65
	v_dual_fmac_f32 v51, 0x3e9e377a, v53 :: v_dual_add_f32 v52, v52, v39
	s_delay_alu instid0(VALU_DEP_3)
	v_dual_add_f32 v30, v45, v30 :: v_dual_sub_f32 v45, v24, v41
	v_add_f32_e32 v55, v67, v39
	v_add_f32_e32 v39, v22, v25
	v_sub_f32_e32 v67, v28, v25
	v_fmac_f32_e32 v49, 0x3e9e377a, v53
	v_fmamk_f32 v53, v54, 0xbf737871, v57
	v_fmac_f32_e32 v21, -0.5, v55
	v_fmac_f32_e32 v57, 0x3f737871, v54
	s_delay_alu instid0(VALU_DEP_3) | instskip(NEXT) | instid1(VALU_DEP_3)
	v_fmac_f32_e32 v53, 0xbf167918, v37
	v_fmamk_f32 v55, v37, 0x3f737871, v21
	s_delay_alu instid0(VALU_DEP_3)
	v_fmac_f32_e32 v57, 0x3f167918, v37
	v_fmac_f32_e32 v21, 0xbf737871, v37
	v_add_f32_e32 v37, v39, v28
	v_fmac_f32_e32 v53, 0x3e9e377a, v44
	v_fmac_f32_e32 v55, 0xbf167918, v54
	v_add_f32_e32 v39, v28, v29
	v_fmac_f32_e32 v57, 0x3e9e377a, v44
	v_add_f32_e32 v37, v37, v29
	v_add_f32_e32 v44, v25, v38
	v_fmac_f32_e32 v55, 0x3e9e377a, v30
	v_fmac_f32_e32 v21, 0x3f167918, v54
	v_fma_f32 v39, -0.5, v39, v22
	v_sub_f32_e32 v54, v25, v28
	v_dual_fmac_f32 v22, -0.5, v44 :: v_dual_sub_f32 v25, v25, v38
	s_delay_alu instid0(VALU_DEP_4) | instskip(SKIP_3) | instid1(VALU_DEP_3)
	v_fmac_f32_e32 v21, 0x3e9e377a, v30
	v_dual_add_f32 v30, v37, v38 :: v_dual_sub_f32 v37, v26, v27
	v_fmamk_f32 v44, v45, 0x3f737871, v39
	v_dual_fmac_f32 v39, 0xbf737871, v45 :: v_dual_add_f32 v54, v54, v56
	v_dual_add_f32 v56, v67, v68 :: v_dual_fmamk_f32 v65, v37, 0xbf737871, v22
	v_fmac_f32_e32 v22, 0x3f737871, v37
	s_delay_alu instid0(VALU_DEP_4) | instskip(NEXT) | instid1(VALU_DEP_4)
	v_fmac_f32_e32 v44, 0x3f167918, v37
	v_fmac_f32_e32 v39, 0xbf167918, v37
	v_add_f32_e32 v37, v26, v27
	v_fmac_f32_e32 v65, 0x3f167918, v45
	v_fmac_f32_e32 v22, 0xbf167918, v45
	v_dual_add_f32 v45, v24, v41 :: v_dual_add_f32 v38, v23, v24
	s_delay_alu instid0(VALU_DEP_4) | instskip(NEXT) | instid1(VALU_DEP_4)
	v_fma_f32 v37, -0.5, v37, v23
	v_dual_sub_f32 v28, v28, v29 :: v_dual_fmac_f32 v65, 0x3e9e377a, v56
	s_delay_alu instid0(VALU_DEP_3) | instskip(SKIP_1) | instid1(VALU_DEP_2)
	v_dual_fmac_f32 v23, -0.5, v45 :: v_dual_fmac_f32 v22, 0x3e9e377a, v56
	v_dual_sub_f32 v45, v24, v26 :: v_dual_sub_f32 v24, v26, v24
	v_dual_sub_f32 v67, v27, v41 :: v_dual_fmamk_f32 v56, v28, 0x3f737871, v23
	v_dual_fmac_f32 v23, 0xbf737871, v28 :: v_dual_add_f32 v26, v38, v26
	s_delay_alu instid0(VALU_DEP_2) | instskip(NEXT) | instid1(VALU_DEP_3)
	v_dual_fmamk_f32 v29, v25, 0xbf737871, v37 :: v_dual_add_f32 v24, v24, v67
	v_fmac_f32_e32 v56, 0xbf167918, v25
	v_fmac_f32_e32 v37, 0x3f737871, v25
	s_delay_alu instid0(VALU_DEP_4) | instskip(SKIP_1) | instid1(VALU_DEP_4)
	v_fmac_f32_e32 v23, 0x3f167918, v25
	v_dual_add_f32 v25, v26, v27 :: v_dual_fmac_f32 v44, 0x3e9e377a, v54
	v_fmac_f32_e32 v56, 0x3e9e377a, v24
	v_fmac_f32_e32 v29, 0xbf167918, v28
	;; [unrolled: 1-line block ×3, first 2 shown]
	s_delay_alu instid0(VALU_DEP_4) | instskip(SKIP_3) | instid1(VALU_DEP_4)
	v_add_f32_e32 v25, v25, v41
	v_fmac_f32_e32 v23, 0x3e9e377a, v24
	v_mul_f32_e32 v26, 0x3f737871, v56
	v_add_f32_e32 v38, v46, v30
	v_add_f32_e32 v68, v52, v25
	v_sub_f32_e32 v25, v52, v25
	s_delay_alu instid0(VALU_DEP_4) | instskip(SKIP_1) | instid1(VALU_DEP_1)
	v_fmac_f32_e32 v26, 0x3e9e377a, v65
	v_mul_f32_e32 v65, 0xbf737871, v65
	v_fmac_f32_e32 v65, 0x3e9e377a, v56
	v_dual_fmac_f32 v39, 0x3e9e377a, v54 :: v_dual_sub_f32 v54, v41, v27
	s_delay_alu instid0(VALU_DEP_2) | instskip(NEXT) | instid1(VALU_DEP_2)
	v_dual_mul_f32 v27, 0x3e9e377a, v22 :: v_dual_add_f32 v76, v55, v65
	v_dual_mul_f32 v28, 0x3f4f1bbd, v39 :: v_dual_add_f32 v45, v45, v54
	s_delay_alu instid0(VALU_DEP_2) | instskip(SKIP_1) | instid1(VALU_DEP_3)
	v_fma_f32 v27, 0x3f737871, v23, -v27
	v_mul_f32_e32 v23, 0x3e9e377a, v23
	v_fmac_f32_e32 v29, 0x3e9e377a, v45
	s_delay_alu instid0(VALU_DEP_3) | instskip(NEXT) | instid1(VALU_DEP_3)
	v_dual_fmac_f32 v37, 0x3e9e377a, v45 :: v_dual_add_f32 v54, v13, v27
	v_fma_f32 v22, 0xbf737871, v22, -v23
	s_delay_alu instid0(VALU_DEP_3) | instskip(NEXT) | instid1(VALU_DEP_3)
	v_dual_sub_f32 v13, v13, v27 :: v_dual_mul_f32 v24, 0x3f167918, v29
	v_fma_f32 v28, 0x3f167918, v37, -v28
	v_mul_f32_e32 v37, 0x3f4f1bbd, v37
	v_add_f32_e32 v45, v48, v26
	v_sub_f32_e32 v26, v48, v26
	v_fmac_f32_e32 v24, 0x3f4f1bbd, v44
	v_mul_f32_e32 v44, 0xbf167918, v44
	v_add_f32_e32 v67, v49, v28
	v_sub_f32_e32 v27, v49, v28
	s_delay_alu instid0(VALU_DEP_3) | instskip(SKIP_1) | instid1(VALU_DEP_2)
	v_dual_add_f32 v41, v51, v24 :: v_dual_fmac_f32 v44, 0x3f4f1bbd, v29
	v_dual_sub_f32 v29, v46, v30 :: v_dual_sub_f32 v24, v51, v24
	v_add_f32_e32 v75, v53, v44
	v_sub_f32_e32 v28, v53, v44
	v_sub_f32_e32 v44, v55, v65
	v_fma_f32 v23, 0xbf167918, v39, -v37
	v_add_nc_u32_e32 v39, 0x2500, v0
	v_lshl_add_u32 v37, v14, 2, 0
	s_delay_alu instid0(VALU_DEP_3)
	v_add_f32_e32 v78, v57, v23
	v_add_f32_e32 v77, v21, v22
	v_sub_f32_e32 v21, v21, v22
	v_sub_f32_e32 v22, v57, v23
	v_add3_u32 v23, 0, v10, v19
	v_lshrrev_b16 v19, 2, v7
	ds_store_2addr_b32 v17, v64, v69 offset0:20 offset1:30
	ds_store_2addr_b32 v17, v71, v40 offset0:40 offset1:50
	;; [unrolled: 1-line block ×4, first 2 shown]
	ds_store_2addr_b32 v23, v38, v41 offset1:10
	ds_store_2addr_b32 v23, v45, v54 offset0:20 offset1:30
	ds_store_2addr_b32 v23, v67, v29 offset0:40 offset1:50
	;; [unrolled: 1-line block ×4, first 2 shown]
	v_add_nc_u32_e32 v13, 0x1600, v0
	v_add_nc_u32_e32 v38, 0x1b00, v0
	;; [unrolled: 1-line block ×3, first 2 shown]
	v_and_b32_e32 v19, 0xffff, v19
	v_add_nc_u32_e32 v40, 0x2a00, v0
	v_add_nc_u32_e32 v41, 0x2000, v0
	global_wb scope:SCOPE_SE
	s_wait_dscnt 0x0
	s_barrier_signal -1
	s_barrier_wait -1
	global_inv scope:SCOPE_SE
	ds_load_2addr_stride64_b32 v[29:30], v0 offset1:15
	v_lshl_add_u32 v36, v15, 2, 0
	ds_load_2addr_b32 v[46:47], v13 offset0:32 offset1:192
	ds_load_2addr_b32 v[48:49], v39 offset0:32 offset1:192
	;; [unrolled: 1-line block ×5, first 2 shown]
	ds_load_b32 v69, v2
	ds_load_b32 v71, v37
	ds_load_2addr_b32 v[56:57], v41 offset0:32 offset1:192
	ds_load_b32 v67, v36
	ds_load_b32 v79, v31
	;; [unrolled: 1-line block ×3, first 2 shown]
	ds_load_b32 v81, v0 offset:12160
	global_wb scope:SCOPE_SE
	s_wait_dscnt 0x0
	s_barrier_signal -1
	s_barrier_wait -1
	global_inv scope:SCOPE_SE
	ds_store_2addr_b32 v17, v66, v70 offset1:10
	ds_store_2addr_b32 v17, v72, v73 offset0:20 offset1:30
	ds_store_2addr_b32 v17, v74, v58 offset0:40 offset1:50
	;; [unrolled: 1-line block ×4, first 2 shown]
	v_mul_u32_u24_e32 v17, 0x147b, v19
	s_wait_alu 0xf1ff
	v_cndmask_b32_e64 v70, v20, v1, s0
	v_mov_b32_e32 v20, 0
	ds_store_2addr_b32 v23, v68, v75 offset1:10
	ds_store_2addr_b32 v23, v76, v77 offset0:20 offset1:30
	ds_store_2addr_b32 v23, v78, v25 offset0:40 offset1:50
	;; [unrolled: 1-line block ×4, first 2 shown]
	v_lshrrev_b32_e32 v17, 17, v17
	v_mul_i32_i24_e32 v19, 3, v70
	v_lshrrev_b16 v24, 2, v14
	global_wb scope:SCOPE_SE
	s_wait_dscnt 0x0
	s_barrier_signal -1
	v_mul_lo_u16 v23, 0x64, v17
	v_lshlrev_b64_e32 v[21:22], 3, v[19:20]
	s_barrier_wait -1
	global_inv scope:SCOPE_SE
	v_lshrrev_b16 v78, 2, v8
	v_sub_nc_u16 v19, v7, v23
	v_and_b32_e32 v23, 0xffff, v24
	v_add_co_u32 v58, s0, s8, v21
	s_wait_alu 0xf1ff
	v_add_co_ci_u32_e64 v59, s0, s9, v22, s0
	s_delay_alu instid0(VALU_DEP_3)
	v_mul_u32_u24_e32 v25, 0x147b, v23
	v_and_b32_e32 v19, 0xffff, v19
	v_cmp_lt_u32_e64 s0, 0x63, v1
	global_load_b128 v[21:24], v[58:59], off offset:720
	v_mul_u32_u24_e32 v17, 0x640, v17
	v_lshrrev_b32_e32 v68, 17, v25
	v_mul_u32_u24_e32 v26, 3, v19
	v_lshlrev_b32_e32 v70, 2, v70
	s_delay_alu instid0(VALU_DEP_3) | instskip(NEXT) | instid1(VALU_DEP_3)
	v_mul_lo_u16 v42, 0x64, v68
	v_lshlrev_b32_e32 v72, 3, v26
	s_delay_alu instid0(VALU_DEP_2) | instskip(SKIP_2) | instid1(VALU_DEP_1)
	v_sub_nc_u16 v42, v14, v42
	global_load_b128 v[25:28], v72, s[8:9] offset:720
	v_and_b32_e32 v73, 0xffff, v42
	v_mul_u32_u24_e32 v42, 3, v73
	s_delay_alu instid0(VALU_DEP_1)
	v_lshlrev_b32_e32 v74, 3, v42
	global_load_b128 v[42:45], v74, s[8:9] offset:720
	ds_load_b32 v66, v36
	ds_load_2addr_b32 v[60:61], v13 offset0:32 offset1:192
	ds_load_2addr_b32 v[62:63], v10 offset0:32 offset1:192
	;; [unrolled: 1-line block ×3, first 2 shown]
	ds_load_b32 v75, v37
	ds_load_b32 v76, v31
	s_wait_loadcnt_dscnt 0x205
	v_mul_f32_e32 v77, v66, v22
	v_mul_f32_e32 v82, v67, v22
	s_wait_dscnt 0x4
	v_mul_f32_e32 v22, v61, v24
	v_dual_mul_f32 v83, v47, v24 :: v_dual_and_b32 v24, 0xffff, v78
	v_fma_f32 v77, v67, v21, -v77
	v_fmac_f32_e32 v82, v66, v21
	ds_load_2addr_b32 v[66:67], v41 offset0:32 offset1:192
	v_fmac_f32_e32 v83, v61, v23
	v_mul_u32_u24_e32 v21, 0x147b, v24
	v_fma_f32 v47, v47, v23, -v22
	s_wait_loadcnt 0x1
	v_mul_f32_e32 v61, v52, v26
	s_delay_alu instid0(VALU_DEP_3)
	v_lshrrev_b32_e32 v84, 17, v21
	s_wait_dscnt 0x4
	v_mul_f32_e32 v22, v62, v26
	v_mul_f32_e32 v78, v51, v28
	s_wait_dscnt 0x3
	v_mul_f32_e32 v23, v65, v28
	v_fmac_f32_e32 v61, v62, v25
	v_mul_lo_u16 v21, 0x64, v84
	v_fma_f32 v52, v52, v25, -v22
	v_fmac_f32_e32 v78, v65, v27
	v_fma_f32 v51, v51, v27, -v23
	v_lshrrev_b16 v25, 2, v11
	v_sub_nc_u16 v21, v8, v21
	v_sub_f32_e32 v47, v29, v47
	s_delay_alu instid0(VALU_DEP_4) | instskip(NEXT) | instid1(VALU_DEP_4)
	v_sub_f32_e32 v51, v80, v51
	v_and_b32_e32 v25, 0xffff, v25
	s_delay_alu instid0(VALU_DEP_4) | instskip(NEXT) | instid1(VALU_DEP_4)
	v_and_b32_e32 v62, 0xffff, v21
	v_fma_f32 v29, v29, 2.0, -v47
	s_wait_loadcnt 0x0
	v_mul_f32_e32 v21, v63, v43
	v_mul_f32_e32 v85, v56, v45
	v_mul_u32_u24_e32 v22, 3, v62
	v_mul_u32_u24_e32 v25, 0x147b, v25
	s_delay_alu instid0(VALU_DEP_4) | instskip(SKIP_1) | instid1(VALU_DEP_3)
	v_fma_f32 v65, v53, v42, -v21
	s_wait_dscnt 0x0
	v_dual_mul_f32 v21, v66, v45 :: v_dual_lshlrev_b32 v86, 3, v22
	v_mul_f32_e32 v53, v53, v43
	v_fmac_f32_e32 v85, v66, v44
	s_delay_alu instid0(VALU_DEP_3)
	v_fma_f32 v56, v56, v44, -v21
	global_load_b128 v[21:24], v86, s[8:9] offset:720
	v_fmac_f32_e32 v53, v63, v42
	v_lshrrev_b32_e32 v63, 17, v25
	s_wait_loadcnt 0x0
	v_mul_f32_e32 v26, v60, v22
	s_delay_alu instid0(VALU_DEP_1) | instskip(SKIP_2) | instid1(VALU_DEP_2)
	v_fma_f32 v66, v46, v21, -v26
	v_mul_f32_e32 v46, v46, v22
	v_mul_lo_u16 v22, 0x64, v63
	v_fmac_f32_e32 v46, v60, v21
	s_delay_alu instid0(VALU_DEP_2) | instskip(SKIP_1) | instid1(VALU_DEP_2)
	v_sub_nc_u16 v22, v11, v22
	v_mul_f32_e32 v21, v67, v24
	v_and_b32_e32 v87, 0xffff, v22
	s_delay_alu instid0(VALU_DEP_2) | instskip(SKIP_1) | instid1(VALU_DEP_3)
	v_fma_f32 v60, v57, v23, -v21
	v_mul_f32_e32 v57, v57, v24
	v_mul_u32_u24_e32 v22, 3, v87
	s_delay_alu instid0(VALU_DEP_1)
	v_dual_fmac_f32 v57, v67, v23 :: v_dual_lshlrev_b32 v42, 3, v22
	s_clause 0x1
	global_load_b128 v[21:24], v42, s[8:9] offset:720
	global_load_b64 v[25:26], v[58:59], off offset:736
	ds_load_2addr_stride64_b32 v[27:28], v0 offset1:15
	v_sub_f32_e32 v57, v76, v57
	global_load_b64 v[44:45], v74, s[8:9] offset:736
	s_wait_loadcnt 0x2
	v_mul_f32_e32 v43, v64, v24
	v_mul_f32_e32 v59, v30, v22
	s_delay_alu instid0(VALU_DEP_2) | instskip(SKIP_3) | instid1(VALU_DEP_3)
	v_fma_f32 v58, v50, v23, -v43
	v_mul_f32_e32 v50, v50, v24
	s_wait_dscnt 0x0
	v_mul_f32_e32 v24, v28, v22
	v_dual_fmac_f32 v59, v28, v21 :: v_dual_sub_f32 v58, v69, v58
	s_delay_alu instid0(VALU_DEP_3)
	v_fmac_f32_e32 v50, v64, v23
	global_load_b64 v[22:23], v42, s[8:9] offset:736
	ds_load_2addr_b32 v[42:43], v39 offset0:32 offset1:192
	v_fma_f32 v30, v30, v21, -v24
	s_wait_loadcnt_dscnt 0x200
	v_mul_f32_e32 v21, v42, v26
	v_mul_f32_e32 v26, v48, v26
	s_delay_alu instid0(VALU_DEP_2) | instskip(NEXT) | instid1(VALU_DEP_2)
	v_fma_f32 v28, v48, v25, -v21
	v_fmac_f32_e32 v26, v42, v25
	global_load_b64 v[24:25], v72, s[8:9] offset:736
	v_sub_f32_e32 v28, v77, v28
	v_sub_f32_e32 v26, v82, v26
	s_delay_alu instid0(VALU_DEP_2) | instskip(SKIP_3) | instid1(VALU_DEP_2)
	v_fma_f32 v64, v77, 2.0, -v28
	s_wait_loadcnt 0x1
	v_mul_f32_e32 v21, v43, v23
	v_mul_f32_e32 v48, v49, v23
	v_fma_f32 v42, v49, v22, -v21
	s_delay_alu instid0(VALU_DEP_2) | instskip(SKIP_4) | instid1(VALU_DEP_2)
	v_fmac_f32_e32 v48, v43, v22
	ds_load_2addr_b32 v[21:22], v40 offset0:32 offset1:192
	ds_load_b32 v49, v0 offset:12160
	v_sub_f32_e32 v42, v30, v42
	v_sub_f32_e32 v48, v59, v48
	v_fma_f32 v30, v30, 2.0, -v42
	s_delay_alu instid0(VALU_DEP_2) | instskip(SKIP_1) | instid1(VALU_DEP_1)
	v_fma_f32 v59, v59, 2.0, -v48
	v_dual_sub_f32 v48, v58, v48 :: v_dual_lshlrev_b32 v19, 2, v19
	v_add3_u32 v17, 0, v17, v19
	s_wait_loadcnt_dscnt 0x1
	v_mul_f32_e32 v23, v21, v25
	v_mul_f32_e32 v25, v54, v25
	s_delay_alu instid0(VALU_DEP_2) | instskip(NEXT) | instid1(VALU_DEP_2)
	v_fma_f32 v43, v54, v24, -v23
	v_fmac_f32_e32 v25, v21, v24
	global_load_b64 v[23:24], v86, s[8:9] offset:736
	v_mul_f32_e32 v21, v22, v45
	v_mul_f32_e32 v45, v55, v45
	v_sub_f32_e32 v43, v52, v43
	v_sub_f32_e32 v25, v61, v25
	s_delay_alu instid0(VALU_DEP_4) | instskip(NEXT) | instid1(VALU_DEP_4)
	v_fma_f32 v21, v55, v44, -v21
	v_fmac_f32_e32 v45, v22, v44
	ds_load_b32 v22, v2
	ds_load_b32 v44, v33
	v_fma_f32 v52, v52, 2.0, -v43
	v_fma_f32 v61, v61, 2.0, -v25
	v_sub_f32_e32 v21, v65, v21
	v_sub_f32_e32 v45, v53, v45
	global_wb scope:SCOPE_SE
	s_wait_loadcnt_dscnt 0x0
	s_barrier_signal -1
	s_barrier_wait -1
	v_fma_f32 v65, v65, 2.0, -v21
	v_fma_f32 v53, v53, 2.0, -v45
	global_inv scope:SCOPE_SE
	v_dual_sub_f32 v25, v51, v25 :: v_dual_sub_f32 v50, v22, v50
	s_delay_alu instid0(VALU_DEP_1) | instskip(SKIP_1) | instid1(VALU_DEP_2)
	v_fma_f32 v22, v22, 2.0, -v50
	v_add_f32_e32 v42, v50, v42
	v_sub_f32_e32 v67, v22, v59
	v_sub_f32_e32 v59, v44, v78
	s_delay_alu instid0(VALU_DEP_3) | instskip(SKIP_1) | instid1(VALU_DEP_4)
	v_fma_f32 v72, v50, 2.0, -v42
	v_sub_f32_e32 v50, v71, v56
	v_fma_f32 v22, v22, 2.0, -v67
	s_delay_alu instid0(VALU_DEP_4) | instskip(SKIP_1) | instid1(VALU_DEP_4)
	v_fma_f32 v44, v44, 2.0, -v59
	v_add_f32_e32 v43, v59, v43
	v_sub_f32_e32 v45, v50, v45
	s_delay_alu instid0(VALU_DEP_3) | instskip(SKIP_1) | instid1(VALU_DEP_2)
	v_sub_f32_e32 v74, v44, v61
	v_sub_f32_e32 v61, v75, v85
	v_fma_f32 v44, v44, 2.0, -v74
	s_delay_alu instid0(VALU_DEP_2) | instskip(SKIP_2) | instid1(VALU_DEP_2)
	v_add_f32_e32 v21, v61, v21
	v_mul_f32_e32 v54, v49, v24
	v_mul_f32_e32 v24, v81, v24
	v_fma_f32 v54, v81, v23, -v54
	s_delay_alu instid0(VALU_DEP_2) | instskip(SKIP_4) | instid1(VALU_DEP_4)
	v_fmac_f32_e32 v24, v49, v23
	v_sub_f32_e32 v49, v29, v64
	v_fma_f32 v64, v69, 2.0, -v58
	v_fma_f32 v58, v58, 2.0, -v48
	v_dual_sub_f32 v54, v66, v54 :: v_dual_sub_f32 v55, v27, v83
	v_fma_f32 v29, v29, 2.0, -v49
	s_delay_alu instid0(VALU_DEP_4) | instskip(SKIP_1) | instid1(VALU_DEP_4)
	v_sub_f32_e32 v30, v64, v30
	v_sub_f32_e32 v24, v46, v24
	v_fma_f32 v66, v66, 2.0, -v54
	v_add_f32_e32 v28, v55, v28
	v_fma_f32 v23, v27, 2.0, -v55
	v_fma_f32 v27, v82, 2.0, -v26
	v_sub_f32_e32 v26, v47, v26
	v_add_f32_e32 v78, v57, v54
	v_fma_f32 v69, v55, 2.0, -v28
	v_fma_f32 v55, v64, 2.0, -v30
	v_fma_f32 v64, v80, 2.0, -v51
	v_fma_f32 v47, v47, 2.0, -v26
	v_fma_f32 v46, v46, 2.0, -v24
	v_fma_f32 v51, v51, 2.0, -v25
	s_delay_alu instid0(VALU_DEP_4) | instskip(NEXT) | instid1(VALU_DEP_1)
	v_sub_f32_e32 v52, v64, v52
	v_fma_f32 v56, v64, 2.0, -v52
	v_fma_f32 v64, v71, 2.0, -v50
	;; [unrolled: 1-line block ×4, first 2 shown]
	v_sub_f32_e32 v59, v79, v60
	v_fma_f32 v50, v50, 2.0, -v45
	v_sub_f32_e32 v65, v64, v65
	v_sub_f32_e32 v77, v71, v53
	s_delay_alu instid0(VALU_DEP_4) | instskip(SKIP_1) | instid1(VALU_DEP_4)
	v_fma_f32 v60, v79, 2.0, -v59
	v_sub_f32_e32 v24, v59, v24
	v_fma_f32 v53, v64, 2.0, -v65
	v_fma_f32 v64, v76, 2.0, -v57
	;; [unrolled: 1-line block ×3, first 2 shown]
	v_sub_f32_e32 v61, v60, v66
	s_wait_alu 0xf1ff
	v_cndmask_b32_e64 v66, 0, 0x640, s0
	v_fma_f32 v59, v59, 2.0, -v24
	v_fma_f32 v71, v71, 2.0, -v77
	v_sub_f32_e32 v46, v64, v46
	v_fma_f32 v54, v60, 2.0, -v61
	v_add3_u32 v66, 0, v66, v70
	v_fma_f32 v70, v57, 2.0, -v78
	v_mul_u32_u24_e32 v57, 0x640, v63
	v_lshlrev_b32_e32 v60, 2, v87
	v_fma_f32 v64, v64, 2.0, -v46
	v_add_nc_u32_e32 v79, 0x200, v66
	ds_store_2addr_b32 v66, v29, v47 offset1:100
	ds_store_2addr_b32 v79, v49, v26 offset0:72 offset1:172
	v_add3_u32 v26, 0, v57, v60
	v_mul_u32_u24_e32 v29, 0x640, v68
	v_lshlrev_b32_e32 v47, 2, v73
	v_mul_u32_u24_e32 v49, 0x640, v84
	v_lshlrev_b32_e32 v57, 2, v62
	v_add_nc_u32_e32 v19, 0x200, v26
	v_add_nc_u32_e32 v62, 0x200, v17
	v_add3_u32 v47, 0, v29, v47
	ds_store_2addr_b32 v26, v55, v58 offset1:100
	v_add3_u32 v49, 0, v49, v57
	ds_store_2addr_b32 v19, v30, v48 offset0:72 offset1:172
	ds_store_2addr_b32 v17, v56, v51 offset1:100
	v_add_nc_u32_e32 v48, 0x200, v47
	v_add_nc_u32_e32 v63, 0x200, v49
	ds_store_2addr_b32 v62, v52, v25 offset0:72 offset1:172
	ds_store_2addr_b32 v47, v53, v50 offset1:100
	ds_store_2addr_b32 v48, v65, v45 offset0:72 offset1:172
	ds_store_2addr_b32 v49, v54, v59 offset1:100
	ds_store_2addr_b32 v63, v61, v24 offset0:72 offset1:172
	global_wb scope:SCOPE_SE
	s_wait_dscnt 0x0
	s_barrier_signal -1
	s_barrier_wait -1
	global_inv scope:SCOPE_SE
	ds_load_2addr_stride64_b32 v[29:30], v0 offset1:15
	ds_load_2addr_b32 v[50:51], v13 offset0:32 offset1:192
	ds_load_2addr_b32 v[52:53], v39 offset0:32 offset1:192
	;; [unrolled: 1-line block ×5, first 2 shown]
	ds_load_b32 v80, v2
	ds_load_b32 v81, v37
	ds_load_2addr_b32 v[60:61], v41 offset0:32 offset1:192
	ds_load_b32 v82, v36
	ds_load_b32 v83, v31
	;; [unrolled: 1-line block ×3, first 2 shown]
	ds_load_b32 v85, v0 offset:12160
	v_sub_f32_e32 v27, v23, v27
	global_wb scope:SCOPE_SE
	s_wait_dscnt 0x0
	s_barrier_signal -1
	s_barrier_wait -1
	global_inv scope:SCOPE_SE
	v_fma_f32 v23, v23, 2.0, -v27
	ds_store_2addr_b32 v66, v23, v69 offset1:100
	ds_store_2addr_b32 v79, v27, v28 offset0:72 offset1:172
	ds_store_2addr_b32 v26, v22, v72 offset1:100
	ds_store_2addr_b32 v19, v67, v42 offset0:72 offset1:172
	;; [unrolled: 2-line block ×4, first 2 shown]
	v_mul_i32_i24_e32 v19, 3, v11
	v_mul_u32_u24_e32 v17, 3, v1
	ds_store_2addr_b32 v49, v64, v70 offset1:100
	ds_store_2addr_b32 v63, v46, v78 offset0:72 offset1:172
	global_wb scope:SCOPE_SE
	s_wait_dscnt 0x0
	v_lshlrev_b64_e32 v[25:26], 3, v[19:20]
	v_lshlrev_b32_e32 v17, 3, v17
	s_barrier_signal -1
	s_barrier_wait -1
	global_inv scope:SCOPE_SE
	v_add_nc_u32_e32 v19, 0xffffffb0, v1
	v_add_co_u32 v42, s0, s8, v25
	s_clause 0x1
	global_load_b128 v[21:24], v17, s[8:9] offset:3120
	global_load_b64 v[62:63], v17, s[8:9] offset:3136
	s_wait_alu 0xf1ff
	v_add_co_ci_u32_e64 v43, s0, s9, v26, s0
	v_cmp_gt_u32_e64 s0, 0x50, v1
	s_clause 0x1
	global_load_b128 v[25:28], v[42:43], off offset:3120
	global_load_b64 v[64:65], v[42:43], off offset:3136
	s_wait_alu 0xf1ff
	v_cndmask_b32_e64 v74, v19, v7, s0
	s_delay_alu instid0(VALU_DEP_1) | instskip(NEXT) | instid1(VALU_DEP_1)
	v_mul_i32_i24_e32 v19, 3, v74
	v_lshlrev_b64_e32 v[44:45], 3, v[19:20]
	s_delay_alu instid0(VALU_DEP_1) | instskip(SKIP_1) | instid1(VALU_DEP_2)
	v_add_co_u32 v66, s0, s8, v44
	s_wait_alu 0xf1ff
	v_add_co_ci_u32_e64 v67, s0, s9, v45, s0
	v_cmp_lt_u32_e64 s0, 0x4f, v1
	global_load_b128 v[42:45], v[66:67], off offset:3120
	ds_load_b32 v19, v36
	ds_load_2addr_b32 v[68:69], v13 offset0:32 offset1:192
	ds_load_2addr_stride64_b32 v[70:71], v0 offset1:15
	ds_load_2addr_b32 v[72:73], v38 offset0:32 offset1:192
	ds_load_b32 v13, v37
	ds_load_b32 v75, v31
	s_wait_loadcnt_dscnt 0x405
	v_mul_f32_e32 v46, v19, v22
	v_mul_f32_e32 v76, v82, v22
	s_wait_dscnt 0x4
	v_mul_f32_e32 v22, v69, v24
	v_mul_f32_e32 v77, v51, v24
	v_fma_f32 v78, v82, v21, -v46
	global_load_b128 v[46:49], v17, s[8:9] offset:5040
	v_fmac_f32_e32 v76, v19, v21
	v_fma_f32 v19, v51, v23, -v22
	s_wait_loadcnt_dscnt 0x302
	v_dual_mul_f32 v21, v71, v26 :: v_dual_mul_f32 v22, v72, v28
	v_fmac_f32_e32 v77, v69, v23
	v_mul_f32_e32 v69, v30, v26
	v_mul_f32_e32 v79, v54, v28
	s_delay_alu instid0(VALU_DEP_4)
	v_fma_f32 v30, v30, v25, -v21
	v_fma_f32 v54, v54, v27, -v22
	ds_load_2addr_b32 v[21:22], v39 offset0:32 offset1:192
	v_fmac_f32_e32 v69, v71, v25
	v_fmac_f32_e32 v79, v72, v27
	global_load_b64 v[25:26], v[66:67], off offset:3136
	ds_load_2addr_b32 v[27:28], v10 offset0:32 offset1:192
	v_dual_sub_f32 v54, v80, v54 :: v_dual_sub_f32 v19, v29, v19
	s_delay_alu instid0(VALU_DEP_1) | instskip(SKIP_3) | instid1(VALU_DEP_2)
	v_fma_f32 v29, v29, 2.0, -v19
	s_wait_dscnt 0x1
	v_mul_f32_e32 v23, v21, v63
	v_mul_f32_e32 v63, v52, v63
	v_fma_f32 v10, v52, v62, -v23
	global_load_b64 v[51:52], v17, s[8:9] offset:5056
	v_fmac_f32_e32 v63, v21, v62
	s_wait_loadcnt 0x4
	v_mul_f32_e32 v21, v22, v65
	s_wait_loadcnt 0x3
	v_dual_mul_f32 v62, v53, v65 :: v_dual_mul_f32 v65, v56, v43
	v_sub_f32_e32 v10, v78, v10
	s_delay_alu instid0(VALU_DEP_3) | instskip(NEXT) | instid1(VALU_DEP_3)
	v_fma_f32 v53, v53, v64, -v21
	v_dual_fmac_f32 v62, v22, v64 :: v_dual_mul_f32 v21, v73, v45
	v_mul_f32_e32 v64, v55, v45
	s_wait_dscnt 0x0
	v_fmac_f32_e32 v65, v27, v42
	v_sub_f32_e32 v53, v30, v53
	v_fma_f32 v55, v55, v44, -v21
	global_load_b128 v[21:24], v17, s[8:9] offset:8880
	v_fmac_f32_e32 v64, v73, v44
	v_mul_f32_e32 v44, v27, v43
	v_fma_f32 v30, v30, 2.0, -v53
	s_delay_alu instid0(VALU_DEP_2)
	v_fma_f32 v56, v56, v42, -v44
	global_load_b64 v[42:43], v17, s[8:9] offset:8896
	ds_load_2addr_b32 v[44:45], v41 offset0:32 offset1:192
	s_wait_loadcnt 0x4
	v_mul_f32_e32 v17, v28, v47
	v_mul_f32_e32 v47, v57, v47
	s_wait_dscnt 0x0
	v_mul_f32_e32 v27, v44, v49
	s_delay_alu instid0(VALU_DEP_3) | instskip(NEXT) | instid1(VALU_DEP_3)
	v_fma_f32 v17, v57, v46, -v17
	v_fmac_f32_e32 v47, v28, v46
	v_mul_f32_e32 v46, v60, v49
	s_delay_alu instid0(VALU_DEP_4)
	v_fma_f32 v49, v60, v48, -v27
	ds_load_2addr_b32 v[27:28], v40 offset0:32 offset1:192
	ds_load_b32 v57, v33
	v_fmac_f32_e32 v46, v44, v48
	ds_load_b32 v48, v0 offset:12160
	v_sub_f32_e32 v49, v81, v49
	v_sub_f32_e32 v46, v13, v46
	s_delay_alu instid0(VALU_DEP_1) | instskip(SKIP_3) | instid1(VALU_DEP_2)
	v_fma_f32 v13, v13, 2.0, -v46
	s_wait_loadcnt_dscnt 0x302
	v_mul_f32_e32 v44, v27, v26
	v_mul_f32_e32 v26, v58, v26
	v_fma_f32 v44, v58, v25, -v44
	s_wait_loadcnt 0x2
	s_delay_alu instid0(VALU_DEP_2)
	v_dual_fmac_f32 v26, v27, v25 :: v_dual_mul_f32 v25, v28, v52
	v_mul_f32_e32 v27, v59, v52
	ds_load_b32 v52, v2
	v_sub_f32_e32 v44, v56, v44
	v_sub_f32_e32 v26, v65, v26
	v_fma_f32 v25, v59, v51, -v25
	v_fmac_f32_e32 v27, v28, v51
	v_sub_f32_e32 v59, v69, v62
	v_fma_f32 v56, v56, 2.0, -v44
	global_wb scope:SCOPE_SE
	s_wait_loadcnt_dscnt 0x0
	v_sub_f32_e32 v25, v17, v25
	v_sub_f32_e32 v27, v47, v27
	s_barrier_signal -1
	s_barrier_wait -1
	global_inv scope:SCOPE_SE
	v_mul_f32_e32 v28, v68, v22
	v_dual_mul_f32 v22, v50, v22 :: v_dual_mul_f32 v51, v45, v24
	v_mul_f32_e32 v24, v61, v24
	v_fma_f32 v17, v17, 2.0, -v25
	s_delay_alu instid0(VALU_DEP_4) | instskip(NEXT) | instid1(VALU_DEP_4)
	v_fma_f32 v28, v50, v21, -v28
	v_fmac_f32_e32 v22, v68, v21
	v_fma_f32 v21, v61, v23, -v51
	v_fmac_f32_e32 v24, v45, v23
	v_mul_f32_e32 v23, v48, v43
	v_mul_f32_e32 v43, v85, v43
	v_dual_sub_f32 v45, v70, v77 :: v_dual_sub_f32 v50, v76, v63
	v_sub_f32_e32 v58, v52, v79
	s_delay_alu instid0(VALU_DEP_4) | instskip(NEXT) | instid1(VALU_DEP_4)
	v_fma_f32 v23, v85, v42, -v23
	v_fmac_f32_e32 v43, v48, v42
	s_delay_alu instid0(VALU_DEP_4)
	v_fma_f32 v42, v70, 2.0, -v45
	v_fma_f32 v48, v76, 2.0, -v50
	;; [unrolled: 1-line block ×5, first 2 shown]
	v_add_f32_e32 v10, v45, v10
	v_sub_f32_e32 v60, v42, v48
	v_fma_f32 v48, v80, 2.0, -v54
	v_sub_f32_e32 v61, v52, v61
	v_sub_f32_e32 v51, v29, v51
	v_fma_f32 v63, v45, 2.0, -v10
	v_sub_f32_e32 v45, v84, v55
	;; [unrolled: 3-line block ×3, first 2 shown]
	v_dual_sub_f32 v24, v75, v24 :: v_dual_sub_f32 v23, v28, v23
	v_sub_f32_e32 v50, v19, v50
	v_fma_f32 v62, v42, 2.0, -v60
	v_fma_f32 v42, v48, 2.0, -v30
	v_sub_f32_e32 v48, v54, v59
	v_add_f32_e32 v59, v58, v53
	v_fma_f32 v53, v57, 2.0, -v52
	v_fma_f32 v57, v65, 2.0, -v26
	v_add_f32_e32 v65, v52, v44
	v_sub_f32_e32 v21, v83, v21
	v_sub_f32_e32 v43, v22, v43
	v_fma_f32 v29, v29, 2.0, -v51
	v_fma_f32 v55, v84, 2.0, -v45
	;; [unrolled: 1-line block ×3, first 2 shown]
	v_add_f32_e32 v71, v24, v23
	v_fma_f32 v19, v19, 2.0, -v50
	v_fma_f32 v44, v47, 2.0, -v27
	v_fma_f32 v68, v52, 2.0, -v65
	v_fma_f32 v47, v83, 2.0, -v21
	v_fma_f32 v52, v75, 2.0, -v24
	v_fma_f32 v28, v28, 2.0, -v23
	v_fma_f32 v22, v22, 2.0, -v43
	v_dual_sub_f32 v56, v55, v56 :: v_dual_sub_f32 v17, v64, v17
	v_fma_f32 v75, v24, 2.0, -v71
	ds_store_b32 v0, v29
	ds_store_b32 v0, v19 offset:1600
	ds_store_b32 v0, v51 offset:3200
	;; [unrolled: 1-line block ×3, first 2 shown]
	s_wait_alu 0xf1ff
	v_cndmask_b32_e64 v19, 0, 0x1900, s0
	v_lshlrev_b32_e32 v24, 2, v74
	v_sub_f32_e32 v26, v45, v26
	v_dual_sub_f32 v27, v49, v27 :: v_dual_sub_f32 v28, v47, v28
	v_sub_f32_e32 v70, v52, v22
	v_sub_f32_e32 v22, v21, v43
	v_lshl_add_u32 v29, v1, 2, 0
	v_fma_f32 v54, v54, 2.0, -v48
	v_sub_f32_e32 v57, v53, v57
	v_fma_f32 v55, v55, 2.0, -v56
	v_sub_f32_e32 v69, v13, v44
	v_fma_f32 v44, v64, 2.0, -v17
	v_add_f32_e32 v64, v46, v25
	v_add3_u32 v19, 0, v19, v24
	v_fma_f32 v45, v45, 2.0, -v26
	v_fma_f32 v25, v49, 2.0, -v27
	;; [unrolled: 1-line block ×5, first 2 shown]
	ds_store_b32 v2, v42
	ds_store_b32 v2, v54 offset:1600
	ds_store_b32 v2, v30 offset:3200
	ds_store_b32 v2, v48 offset:4800
	v_add_nc_u32_e32 v54, 0x1a00, v29
	v_lshl_add_u32 v51, v16, 2, 0
	v_lshl_add_u32 v52, v18, 2, 0
	v_fma_f32 v67, v53, 2.0, -v57
	v_fma_f32 v72, v46, 2.0, -v64
	v_add_nc_u32_e32 v74, 0x2000, v29
	v_add_nc_u32_e32 v76, 0x2600, v29
	;; [unrolled: 1-line block ×3, first 2 shown]
	ds_store_b32 v19, v55
	ds_store_b32 v19, v45 offset:1600
	ds_store_b32 v19, v56 offset:3200
	;; [unrolled: 1-line block ×3, first 2 shown]
	ds_store_2addr_b32 v54, v44, v23 offset0:16 offset1:176
	ds_store_2addr_b32 v74, v25, v21 offset0:32 offset1:192
	;; [unrolled: 1-line block ×4, first 2 shown]
	global_wb scope:SCOPE_SE
	s_wait_dscnt 0x0
	s_barrier_signal -1
	s_barrier_wait -1
	global_inv scope:SCOPE_SE
	ds_load_2addr_stride64_b32 v[21:22], v0 offset1:25
	ds_load_2addr_b32 v[23:24], v38 offset0:32 offset1:192
	ds_load_2addr_b32 v[25:26], v41 offset0:32 offset1:192
	;; [unrolled: 1-line block ×3, first 2 shown]
	ds_load_b32 v42, v31
	ds_load_b32 v46, v32
	;; [unrolled: 1-line block ×3, first 2 shown]
	ds_load_2addr_b32 v[29:30], v40 offset0:32 offset1:192
	ds_load_b32 v45, v37
	ds_load_b32 v48, v36
	;; [unrolled: 1-line block ×6, first 2 shown]
	ds_load_b32 v53, v0 offset:12160
	v_fma_f32 v58, v58, 2.0, -v59
	v_fma_f32 v13, v13, 2.0, -v69
	global_wb scope:SCOPE_SE
	s_wait_dscnt 0x0
	s_barrier_signal -1
	s_barrier_wait -1
	global_inv scope:SCOPE_SE
	ds_store_b32 v0, v62
	ds_store_b32 v0, v63 offset:1600
	ds_store_b32 v0, v60 offset:3200
	ds_store_b32 v0, v10 offset:4800
	ds_store_b32 v2, v66
	ds_store_b32 v2, v58 offset:1600
	ds_store_b32 v2, v61 offset:3200
	ds_store_b32 v2, v59 offset:4800
	;; [unrolled: 4-line block ×3, first 2 shown]
	ds_store_2addr_b32 v54, v13, v73 offset0:16 offset1:176
	ds_store_2addr_b32 v74, v72, v75 offset0:32 offset1:192
	;; [unrolled: 1-line block ×4, first 2 shown]
	global_wb scope:SCOPE_SE
	s_wait_dscnt 0x0
	s_barrier_signal -1
	s_barrier_wait -1
	global_inv scope:SCOPE_SE
	s_and_saveexec_b32 s0, vcc_lo
	s_cbranch_execz .LBB0_15
; %bb.14:
	v_dual_mov_b32 v19, v20 :: v_dual_mov_b32 v10, v20
	v_mov_b32_e32 v13, v20
	v_dual_mov_b32 v17, v20 :: v_dual_add_nc_u32 v64, 0xa0, v1
	s_delay_alu instid0(VALU_DEP_3) | instskip(NEXT) | instid1(VALU_DEP_4)
	v_lshlrev_b64_e32 v[18:19], 3, v[18:19]
	v_lshlrev_b64_e32 v[9:10], 3, v[9:10]
	s_delay_alu instid0(VALU_DEP_4) | instskip(NEXT) | instid1(VALU_DEP_4)
	v_lshlrev_b64_e32 v[12:13], 3, v[12:13]
	v_lshlrev_b64_e32 v[16:17], 3, v[16:17]
	v_add_nc_u32_e32 v65, 0x140, v1
	v_add_nc_u32_e32 v67, 0x280, v1
	v_add_co_u32 v18, vcc_lo, s8, v18
	s_wait_alu 0xfffd
	v_add_co_ci_u32_e32 v19, vcc_lo, s9, v19, vcc_lo
	v_add_co_u32 v12, vcc_lo, s8, v12
	s_wait_alu 0xfffd
	v_add_co_ci_u32_e32 v13, vcc_lo, s9, v13, vcc_lo
	v_add_co_u32 v54, vcc_lo, s8, v16
	v_mov_b32_e32 v16, v20
	s_wait_alu 0xfffd
	v_add_co_ci_u32_e32 v55, vcc_lo, s9, v17, vcc_lo
	v_add_co_u32 v56, vcc_lo, s8, v9
	v_mov_b32_e32 v9, v20
	v_lshlrev_b64_e32 v[16:17], 3, v[15:16]
	v_dual_mov_b32 v15, v20 :: v_dual_mov_b32 v2, v20
	s_wait_alu 0xfffd
	v_add_co_ci_u32_e32 v57, vcc_lo, s9, v10, vcc_lo
	v_lshlrev_b64_e32 v[8:9], 3, v[8:9]
	s_clause 0x3
	global_load_b64 v[18:19], v[18:19], off offset:12720
	global_load_b64 v[58:59], v[12:13], off offset:12720
	;; [unrolled: 1-line block ×4, first 2 shown]
	v_add_co_u32 v16, vcc_lo, s8, v16
	v_lshlrev_b64_e32 v[12:13], 3, v[14:15]
	s_wait_alu 0xfffd
	v_add_co_ci_u32_e32 v17, vcc_lo, s9, v17, vcc_lo
	v_add_co_u32 v14, vcc_lo, s8, v8
	v_mov_b32_e32 v8, v20
	s_wait_alu 0xfffd
	v_add_co_ci_u32_e32 v15, vcc_lo, s9, v9, vcc_lo
	v_add_co_u32 v9, vcc_lo, s8, v12
	v_mov_b32_e32 v12, v20
	v_lshlrev_b64_e32 v[7:8], 3, v[7:8]
	s_wait_alu 0xfffd
	v_add_co_ci_u32_e32 v10, vcc_lo, s9, v13, vcc_lo
	s_clause 0x2
	global_load_b64 v[16:17], v[16:17], off offset:12720
	global_load_b64 v[13:14], v[14:15], off offset:12720
	;; [unrolled: 1-line block ×3, first 2 shown]
	v_lshlrev_b64_e32 v[60:61], 3, v[11:12]
	v_add_co_u32 v7, vcc_lo, s8, v7
	s_wait_alu 0xfffd
	v_add_co_ci_u32_e32 v8, vcc_lo, s9, v8, vcc_lo
	v_lshlrev_b64_e32 v[62:63], 3, v[1:2]
	s_delay_alu instid0(VALU_DEP_4)
	v_add_co_u32 v60, vcc_lo, s8, v60
	s_wait_alu 0xfffd
	v_add_co_ci_u32_e32 v61, vcc_lo, s9, v61, vcc_lo
	s_clause 0x1
	global_load_b64 v[7:8], v[7:8], off offset:12720
	global_load_b64 v[60:61], v[60:61], off offset:12720
	v_add_co_u32 v62, vcc_lo, s8, v62
	s_wait_alu 0xfffd
	v_add_co_ci_u32_e32 v63, vcc_lo, s9, v63, vcc_lo
	v_mul_hi_u32 v15, 0x51eb851f, v1
	v_mul_i32_i24_e32 v20, 0xffffffdc, v11
	v_mul_lo_u32 v11, s3, v5
	global_load_b64 v[62:63], v[62:63], off offset:12720
	v_mul_lo_u32 v12, s2, v6
	v_mad_co_u64_u32 v[5:6], null, s2, v5, 0
	v_lshlrev_b64_e32 v[2:3], 3, v[3:4]
	v_lshrrev_b32_e32 v4, 9, v15
	v_add_nc_u32_e32 v68, 0x320, v1
	v_mul_hi_u32 v69, 0x51eb851f, v64
	v_mul_hi_u32 v70, 0x51eb851f, v65
	v_add3_u32 v6, v6, v12, v11
	v_mul_u32_u24_e32 v15, 0x640, v4
	v_mul_hi_u32 v11, 0x51eb851f, v67
	v_mul_hi_u32 v12, 0x51eb851f, v68
	s_delay_alu instid0(VALU_DEP_4) | instskip(NEXT) | instid1(VALU_DEP_4)
	v_lshlrev_b64_e32 v[4:5], 3, v[5:6]
	v_sub_nc_u32_e32 v15, v1, v15
	v_lshrrev_b32_e32 v6, 9, v69
	v_lshrrev_b32_e32 v69, 9, v70
	;; [unrolled: 1-line block ×3, first 2 shown]
	v_add_co_u32 v76, vcc_lo, s6, v4
	s_wait_alu 0xfffd
	v_add_co_ci_u32_e32 v77, vcc_lo, s7, v5, vcc_lo
	v_add_nc_u32_e32 v78, 0x640, v15
	s_delay_alu instid0(VALU_DEP_3)
	v_add_co_u32 v89, vcc_lo, v76, v2
	v_mad_co_u64_u32 v[4:5], null, s16, v15, 0
	s_wait_alu 0xfffd
	v_add_co_ci_u32_e32 v90, vcc_lo, v77, v3, vcc_lo
	v_mad_co_u64_u32 v[2:3], null, s16, v78, 0
	v_lshrrev_b32_e32 v12, 9, v12
	v_mul_u32_u24_e32 v74, 0x640, v11
	v_mul_u32_u24_e32 v72, 0x640, v69
	s_delay_alu instid0(VALU_DEP_3) | instskip(SKIP_3) | instid1(VALU_DEP_4)
	v_mul_u32_u24_e32 v75, 0x640, v12
	v_mad_co_u64_u32 v[76:77], null, s17, v78, v[3:4]
	v_add_nc_u32_e32 v66, 0x1e0, v1
	v_sub_nc_u32_e32 v67, v67, v74
	v_sub_nc_u32_e32 v68, v68, v75
	s_delay_alu instid0(VALU_DEP_3) | instskip(NEXT) | instid1(VALU_DEP_3)
	v_mul_hi_u32 v71, 0x51eb851f, v66
	v_mad_u32_u24 v82, 0xc80, v11, v67
	s_delay_alu instid0(VALU_DEP_3) | instskip(NEXT) | instid1(VALU_DEP_3)
	v_mad_u32_u24 v91, 0xc80, v12, v68
	v_lshrrev_b32_e32 v70, 9, v71
	v_mul_u32_u24_e32 v71, 0x640, v6
	s_delay_alu instid0(VALU_DEP_2) | instskip(NEXT) | instid1(VALU_DEP_2)
	v_mul_u32_u24_e32 v73, 0x640, v70
	v_sub_nc_u32_e32 v64, v64, v71
	s_delay_alu instid0(VALU_DEP_1) | instskip(SKIP_1) | instid1(VALU_DEP_2)
	v_mad_u32_u24 v79, 0xc80, v6, v64
	v_mad_co_u64_u32 v[5:6], null, s17, v15, v[5:6]
	v_mad_co_u64_u32 v[11:12], null, s16, v79, 0
	s_delay_alu instid0(VALU_DEP_1) | instskip(SKIP_1) | instid1(VALU_DEP_1)
	v_mov_b32_e32 v6, v12
	v_sub_nc_u32_e32 v65, v65, v72
	v_mad_u32_u24 v80, 0xc80, v69, v65
	v_mad_co_u64_u32 v[68:69], null, s16, v82, 0
	s_delay_alu instid0(VALU_DEP_2) | instskip(NEXT) | instid1(VALU_DEP_2)
	v_mad_co_u64_u32 v[64:65], null, s16, v80, 0
	v_dual_mov_b32 v15, v69 :: v_dual_add_nc_u32 v84, 0x640, v80
	s_delay_alu instid0(VALU_DEP_1) | instskip(NEXT) | instid1(VALU_DEP_3)
	v_mad_co_u64_u32 v[74:75], null, s16, v84, 0
	v_mov_b32_e32 v3, v65
	s_delay_alu instid0(VALU_DEP_2) | instskip(SKIP_2) | instid1(VALU_DEP_3)
	v_dual_mov_b32 v12, v75 :: v_dual_add_nc_u32 v83, 0x640, v79
	s_wait_loadcnt 0x2
	v_mad_co_u64_u32 v[77:78], null, s17, v79, v[6:7]
	v_mad_co_u64_u32 v[78:79], null, s17, v80, v[3:4]
	v_mov_b32_e32 v3, v76
	v_sub_nc_u32_e32 v66, v66, v73
	v_mad_co_u64_u32 v[72:73], null, s16, v83, 0
	v_mad_co_u64_u32 v[79:80], null, s17, v84, v[12:13]
	s_delay_alu instid0(VALU_DEP_3) | instskip(SKIP_3) | instid1(VALU_DEP_4)
	v_mad_u32_u24 v81, 0xc80, v70, v66
	v_mad_co_u64_u32 v[70:71], null, s16, v91, 0
	v_mov_b32_e32 v12, v77
	v_mov_b32_e32 v6, v73
	v_mad_co_u64_u32 v[66:67], null, s16, v81, 0
	v_dual_mov_b32 v65, v78 :: v_dual_add_nc_u32 v88, 0x3c0, v1
	s_delay_alu instid0(VALU_DEP_3)
	v_mad_co_u64_u32 v[75:76], null, s17, v83, v[6:7]
	v_add_nc_u32_e32 v86, 0x640, v81
	ds_load_2addr_b32 v[83:84], v40 offset0:32 offset1:192
	ds_load_2addr_b32 v[39:40], v39 offset0:32 offset1:192
	v_mov_b32_e32 v6, v67
	v_mul_hi_u32 v85, 0x51eb851f, v88
	v_add_nc_u32_e32 v20, v34, v20
	v_lshlrev_b64_e32 v[4:5], 3, v[4:5]
	v_mov_b32_e32 v73, v75
	v_mad_co_u64_u32 v[76:77], null, s17, v81, v[6:7]
	v_dual_mov_b32 v6, v71 :: v_dual_mov_b32 v75, v79
	v_mad_co_u64_u32 v[77:78], null, s17, v82, v[15:16]
	v_add_nc_u32_e32 v15, 0x640, v82
	s_delay_alu instid0(VALU_DEP_3)
	v_mad_co_u64_u32 v[80:81], null, s17, v91, v[6:7]
	v_mad_co_u64_u32 v[81:82], null, s16, v86, 0
	v_mov_b32_e32 v67, v76
	v_mov_b32_e32 v69, v77
	v_mad_co_u64_u32 v[76:77], null, s16, v15, 0
	v_lshrrev_b32_e32 v92, 9, v85
	v_dual_mov_b32 v71, v80 :: v_dual_mov_b32 v6, v82
	v_lshlrev_b64_e32 v[2:3], 3, v[2:3]
	v_add_co_u32 v4, vcc_lo, v89, v4
	s_delay_alu instid0(VALU_DEP_4) | instskip(NEXT) | instid1(VALU_DEP_4)
	v_mul_u32_u24_e32 v34, 0x640, v92
	v_mad_co_u64_u32 v[85:86], null, s17, v86, v[6:7]
	v_mov_b32_e32 v6, v77
	ds_load_2addr_b32 v[86:87], v41 offset0:32 offset1:192
	v_add_nc_u32_e32 v41, 0x640, v91
	v_lshlrev_b64_e32 v[11:12], 3, v[11:12]
	s_wait_alu 0xfffd
	v_add_co_ci_u32_e32 v5, vcc_lo, v90, v5, vcc_lo
	v_mad_co_u64_u32 v[77:78], null, s17, v15, v[6:7]
	s_wait_dscnt 0x2
	v_dual_mul_f32 v15, v58, v84 :: v_dual_mov_b32 v82, v85
	v_mul_f32_e32 v6, v59, v84
	v_sub_nc_u32_e32 v85, v88, v34
	v_mad_co_u64_u32 v[78:79], null, s16, v41, 0
	s_delay_alu instid0(VALU_DEP_4)
	v_fmac_f32_e32 v15, v30, v59
	v_lshlrev_b64_e32 v[80:81], 3, v[81:82]
	ds_load_b32 v82, v0 offset:12160
	ds_load_b32 v84, v33
	ds_load_2addr_b32 v[33:34], v38 offset0:32 offset1:192
	v_fma_f32 v30, v30, v58, -v6
	s_wait_dscnt 0x4
	v_mul_f32_e32 v38, v56, v40
	v_dual_mov_b32 v6, v79 :: v_dual_mul_f32 v79, v54, v83
	v_mul_f32_e32 v83, v55, v83
	v_lshlrev_b64_e32 v[64:65], 3, v[64:65]
	v_add_co_u32 v2, vcc_lo, v89, v2
	s_delay_alu instid0(VALU_DEP_4)
	v_fmac_f32_e32 v79, v29, v55
	v_mad_co_u64_u32 v[58:59], null, s17, v41, v[6:7]
	v_fma_f32 v29, v29, v54, -v83
	s_wait_dscnt 0x3
	v_mul_f32_e32 v41, v13, v87
	v_dual_mul_f32 v6, v57, v40 :: v_dual_mul_f32 v59, v10, v86
	v_dual_mul_f32 v40, v16, v39 :: v_dual_mul_f32 v55, v9, v86
	s_wait_dscnt 0x2
	v_mul_f32_e32 v83, v18, v82
	v_mul_f32_e32 v82, v19, v82
	s_wait_loadcnt_dscnt 0x100
	v_mul_f32_e32 v86, v60, v33
	v_dual_mul_f32 v54, v14, v87 :: v_dual_mul_f32 v33, v61, v33
	v_fmac_f32_e32 v83, v53, v19
	v_fma_f32 v53, v53, v18, -v82
	v_mul_f32_e32 v82, v7, v34
	ds_load_2addr_stride64_b32 v[18:19], v0 offset1:25
	ds_load_b32 v0, v52
	ds_load_b32 v52, v36
	;; [unrolled: 1-line block ×8, first 2 shown]
	s_wait_alu 0xfffd
	v_add_co_ci_u32_e32 v3, vcc_lo, v90, v3, vcc_lo
	v_lshlrev_b64_e32 v[66:67], 3, v[66:67]
	v_add_co_u32 v11, vcc_lo, v89, v11
	s_wait_alu 0xfffd
	v_add_co_ci_u32_e32 v12, vcc_lo, v90, v12, vcc_lo
	v_lshlrev_b64_e32 v[68:69], 3, v[68:69]
	v_add_co_u32 v64, vcc_lo, v89, v64
	s_wait_loadcnt_dscnt 0x8
	v_dual_mul_f32 v34, v8, v34 :: v_dual_mul_f32 v31, v62, v19
	v_fma_f32 v20, v28, v56, -v6
	v_dual_mul_f32 v6, v63, v19 :: v_dual_fmac_f32 v55, v25, v10
	s_wait_alu 0xfffd
	v_add_co_ci_u32_e32 v65, vcc_lo, v90, v65, vcc_lo
	v_lshlrev_b64_e32 v[72:73], 3, v[72:73]
	v_add_co_u32 v66, vcc_lo, v89, v66
	s_wait_alu 0xfffd
	v_add_co_ci_u32_e32 v67, vcc_lo, v90, v67, vcc_lo
	v_dual_mul_f32 v39, v17, v39 :: v_dual_fmac_f32 v40, v27, v17
	v_fmac_f32_e32 v31, v22, v63
	v_fma_f32 v10, v25, v9, -v59
	v_fma_f32 v32, v23, v60, -v33
	;; [unrolled: 1-line block ×3, first 2 shown]
	v_lshlrev_b64_e32 v[74:75], 3, v[74:75]
	v_add_co_u32 v68, vcc_lo, v89, v68
	v_dual_fmac_f32 v38, v28, v57 :: v_dual_fmac_f32 v41, v26, v14
	v_fma_f32 v26, v26, v13, -v54
	s_wait_dscnt 0x3
	v_dual_fmac_f32 v82, v24, v8 :: v_dual_sub_f32 v9, v35, v15
	v_fma_f32 v28, v24, v7, -v34
	v_dual_fmac_f32 v86, v23, v61 :: v_dual_sub_f32 v7, v0, v83
	s_wait_alu 0xfffd
	v_add_co_ci_u32_e32 v69, vcc_lo, v90, v69, vcc_lo
	v_add_co_u32 v72, vcc_lo, v89, v72
	v_fma_f32 v17, v27, v16, -v39
	v_dual_sub_f32 v8, v49, v30 :: v_dual_sub_f32 v13, v47, v29
	v_dual_sub_f32 v24, v45, v10 :: v_dual_sub_f32 v31, v18, v31
	v_sub_f32_e32 v30, v21, v33
	s_wait_alu 0xfffd
	v_add_co_ci_u32_e32 v73, vcc_lo, v90, v73, vcc_lo
	v_lshlrev_b64_e32 v[76:77], 3, v[76:77]
	v_add_co_u32 v74, vcc_lo, v89, v74
	v_dual_sub_f32 v6, v50, v53 :: v_dual_sub_f32 v25, v51, v55
	v_dual_sub_f32 v14, v36, v79 :: v_dual_sub_f32 v15, v46, v20
	s_wait_dscnt 0x0
	v_dual_sub_f32 v20, v52, v40 :: v_dual_sub_f32 v29, v91, v86
	v_dual_sub_f32 v23, v88, v41 :: v_dual_sub_f32 v22, v42, v26
	v_sub_f32_e32 v27, v84, v82
	v_sub_f32_e32 v26, v44, v28
	;; [unrolled: 1-line block ×3, first 2 shown]
	s_wait_alu 0xfffd
	v_add_co_ci_u32_e32 v75, vcc_lo, v90, v75, vcc_lo
	v_add_co_u32 v80, vcc_lo, v89, v80
	v_dual_sub_f32 v16, v87, v38 :: v_dual_sub_f32 v19, v48, v17
	v_fma_f32 v18, v18, 2.0, -v31
	v_mov_b32_e32 v79, v58
	v_fma_f32 v17, v21, 2.0, -v30
	s_wait_alu 0xfffd
	v_add_co_ci_u32_e32 v81, vcc_lo, v90, v81, vcc_lo
	v_fma_f32 v32, v50, 2.0, -v6
	v_fma_f32 v34, v49, 2.0, -v8
	;; [unrolled: 1-line block ×5, first 2 shown]
	v_add_co_u32 v76, vcc_lo, v89, v76
	v_fma_f32 v38, v46, 2.0, -v15
	v_fma_f32 v46, v42, 2.0, -v22
	;; [unrolled: 1-line block ×4, first 2 shown]
	s_wait_alu 0xfffd
	v_add_co_ci_u32_e32 v77, vcc_lo, v90, v77, vcc_lo
	v_fma_f32 v37, v36, 2.0, -v14
	v_fma_f32 v36, v47, 2.0, -v13
	;; [unrolled: 1-line block ×5, first 2 shown]
	s_clause 0x9
	global_store_b64 v[4:5], v[17:18], off
	global_store_b64 v[2:3], v[30:31], off
	;; [unrolled: 1-line block ×10, first 2 shown]
	v_mad_u32_u24 v12, 0xc80, v92, v85
	v_add_nc_u32_e32 v23, 0x460, v1
	v_fma_f32 v33, v0, 2.0, -v7
	v_lshlrev_b64_e32 v[2:3], 3, v[70:71]
	v_lshlrev_b64_e32 v[10:11], 3, v[78:79]
	v_mad_co_u64_u32 v[4:5], null, s16, v12, 0
	v_mul_hi_u32 v17, 0x51eb851f, v23
	v_fma_f32 v41, v52, 2.0, -v20
	v_add_co_u32 v2, vcc_lo, v89, v2
	s_wait_alu 0xfffd
	v_add_co_ci_u32_e32 v3, vcc_lo, v90, v3, vcc_lo
	v_mov_b32_e32 v0, v5
	v_add_co_u32 v10, vcc_lo, v89, v10
	v_lshrrev_b32_e32 v25, 9, v17
	s_wait_alu 0xfffd
	v_add_co_ci_u32_e32 v11, vcc_lo, v90, v11, vcc_lo
	v_mad_co_u64_u32 v[21:22], null, s17, v12, v[0:1]
	v_add_nc_u32_e32 v24, 0x640, v12
	v_mul_u32_u24_e32 v5, 0x640, v25
	v_add_nc_u32_e32 v12, 0x500, v1
	s_clause 0x1
	global_store_b64 v[2:3], v[40:41], off
	global_store_b64 v[10:11], v[19:20], off
	v_fma_f32 v39, v87, 2.0, -v16
	v_mad_co_u64_u32 v[17:18], null, s16, v24, 0
	v_fma_f32 v35, v35, 2.0, -v9
	s_delay_alu instid0(VALU_DEP_2) | instskip(SKIP_2) | instid1(VALU_DEP_3)
	v_mov_b32_e32 v0, v18
	v_sub_nc_u32_e32 v18, v23, v5
	v_mov_b32_e32 v5, v21
	v_mad_co_u64_u32 v[21:22], null, s17, v24, v[0:1]
	s_delay_alu instid0(VALU_DEP_3) | instskip(SKIP_1) | instid1(VALU_DEP_4)
	v_mad_u32_u24 v22, 0xc80, v25, v18
	v_mul_hi_u32 v0, 0x51eb851f, v12
	v_lshlrev_b64_e32 v[2:3], 3, v[4:5]
	s_delay_alu instid0(VALU_DEP_3) | instskip(SKIP_1) | instid1(VALU_DEP_4)
	v_mad_co_u64_u32 v[4:5], null, s16, v22, 0
	v_dual_mov_b32 v18, v21 :: v_dual_add_nc_u32 v21, 0x5a0, v1
	v_lshrrev_b32_e32 v19, 9, v0
	v_add_nc_u32_e32 v20, 0x640, v22
	v_add_co_u32 v2, vcc_lo, v89, v2
	v_mov_b32_e32 v0, v5
	s_delay_alu instid0(VALU_DEP_4) | instskip(SKIP_2) | instid1(VALU_DEP_4)
	v_mul_u32_u24_e32 v5, 0x640, v19
	v_lshlrev_b64_e32 v[10:11], 3, v[17:18]
	v_mad_co_u64_u32 v[17:18], null, s16, v20, 0
	v_mad_co_u64_u32 v[0:1], null, s17, v22, v[0:1]
	s_delay_alu instid0(VALU_DEP_4)
	v_sub_nc_u32_e32 v1, v12, v5
	v_mul_hi_u32 v12, 0x51eb851f, v21
	s_wait_alu 0xfffd
	v_add_co_ci_u32_e32 v3, vcc_lo, v90, v3, vcc_lo
	v_add_co_u32 v10, vcc_lo, v89, v10
	v_mad_u32_u24 v19, 0xc80, v19, v1
	v_mov_b32_e32 v5, v0
	s_wait_alu 0xfffd
	v_add_co_ci_u32_e32 v11, vcc_lo, v90, v11, vcc_lo
	v_lshrrev_b32_e32 v12, 9, v12
	global_store_b64 v[2:3], v[38:39], off
	v_mov_b32_e32 v2, v18
	v_add_nc_u32_e32 v18, 0x640, v19
	v_lshlrev_b64_e32 v[0:1], 3, v[4:5]
	v_mul_u32_u24_e32 v5, 0x640, v12
	v_mad_co_u64_u32 v[3:4], null, s16, v19, 0
	global_store_b64 v[10:11], v[15:16], off
	v_mad_co_u64_u32 v[10:11], null, s16, v18, 0
	v_sub_nc_u32_e32 v5, v21, v5
	v_add_co_u32 v0, vcc_lo, v89, v0
	v_mad_co_u64_u32 v[15:16], null, s17, v20, v[2:3]
	s_delay_alu instid0(VALU_DEP_3)
	v_mad_u32_u24 v21, 0xc80, v12, v5
	v_mov_b32_e32 v2, v11
	v_mad_co_u64_u32 v[4:5], null, s17, v19, v[4:5]
	s_wait_alu 0xfffd
	v_add_co_ci_u32_e32 v1, vcc_lo, v90, v1, vcc_lo
	v_add_nc_u32_e32 v5, 0x640, v21
	v_mad_co_u64_u32 v[19:20], null, s16, v21, 0
	v_mad_co_u64_u32 v[11:12], null, s17, v18, v[2:3]
	v_mov_b32_e32 v18, v15
	s_delay_alu instid0(VALU_DEP_4)
	v_mad_co_u64_u32 v[15:16], null, s16, v5, 0
	global_store_b64 v[0:1], v[36:37], off
	v_mov_b32_e32 v0, v20
	v_lshlrev_b64_e32 v[1:2], 3, v[17:18]
	v_lshlrev_b64_e32 v[3:4], 3, v[3:4]
	;; [unrolled: 1-line block ×3, first 2 shown]
	s_delay_alu instid0(VALU_DEP_3)
	v_mad_co_u64_u32 v[17:18], null, s17, v21, v[0:1]
	v_mov_b32_e32 v0, v16
	v_add_co_u32 v1, vcc_lo, v89, v1
	s_wait_alu 0xfffd
	v_add_co_ci_u32_e32 v2, vcc_lo, v90, v2, vcc_lo
	v_add_co_u32 v3, vcc_lo, v89, v3
	s_delay_alu instid0(VALU_DEP_3) | instskip(SKIP_4) | instid1(VALU_DEP_3)
	v_mad_co_u64_u32 v[21:22], null, s17, v5, v[0:1]
	v_mov_b32_e32 v20, v17
	s_wait_alu 0xfffd
	v_add_co_ci_u32_e32 v4, vcc_lo, v90, v4, vcc_lo
	v_add_co_u32 v10, vcc_lo, v89, v10
	v_lshlrev_b64_e32 v[17:18], 3, v[19:20]
	v_mov_b32_e32 v16, v21
	s_wait_alu 0xfffd
	v_add_co_ci_u32_e32 v11, vcc_lo, v90, v11, vcc_lo
	s_delay_alu instid0(VALU_DEP_2) | instskip(NEXT) | instid1(VALU_DEP_4)
	v_lshlrev_b64_e32 v[15:16], 3, v[15:16]
	v_add_co_u32 v17, vcc_lo, v89, v17
	s_wait_alu 0xfffd
	v_add_co_ci_u32_e32 v18, vcc_lo, v90, v18, vcc_lo
	s_delay_alu instid0(VALU_DEP_3)
	v_add_co_u32 v15, vcc_lo, v89, v15
	s_wait_alu 0xfffd
	v_add_co_ci_u32_e32 v16, vcc_lo, v90, v16, vcc_lo
	s_clause 0x4
	global_store_b64 v[1:2], v[13:14], off
	global_store_b64 v[3:4], v[34:35], off
	global_store_b64 v[10:11], v[8:9], off
	global_store_b64 v[17:18], v[32:33], off
	global_store_b64 v[15:16], v[6:7], off
.LBB0_15:
	s_nop 0
	s_sendmsg sendmsg(MSG_DEALLOC_VGPRS)
	s_endpgm
	.section	.rodata,"a",@progbits
	.p2align	6, 0x0
	.amdhsa_kernel fft_rtc_fwd_len3200_factors_10_10_4_4_2_wgs_160_tpt_160_halfLds_sp_op_CI_CI_sbrr_dirReg
		.amdhsa_group_segment_fixed_size 0
		.amdhsa_private_segment_fixed_size 0
		.amdhsa_kernarg_size 104
		.amdhsa_user_sgpr_count 2
		.amdhsa_user_sgpr_dispatch_ptr 0
		.amdhsa_user_sgpr_queue_ptr 0
		.amdhsa_user_sgpr_kernarg_segment_ptr 1
		.amdhsa_user_sgpr_dispatch_id 0
		.amdhsa_user_sgpr_private_segment_size 0
		.amdhsa_wavefront_size32 1
		.amdhsa_uses_dynamic_stack 0
		.amdhsa_enable_private_segment 0
		.amdhsa_system_sgpr_workgroup_id_x 1
		.amdhsa_system_sgpr_workgroup_id_y 0
		.amdhsa_system_sgpr_workgroup_id_z 0
		.amdhsa_system_sgpr_workgroup_info 0
		.amdhsa_system_vgpr_workitem_id 0
		.amdhsa_next_free_vgpr 93
		.amdhsa_next_free_sgpr 43
		.amdhsa_reserve_vcc 1
		.amdhsa_float_round_mode_32 0
		.amdhsa_float_round_mode_16_64 0
		.amdhsa_float_denorm_mode_32 3
		.amdhsa_float_denorm_mode_16_64 3
		.amdhsa_fp16_overflow 0
		.amdhsa_workgroup_processor_mode 1
		.amdhsa_memory_ordered 1
		.amdhsa_forward_progress 0
		.amdhsa_round_robin_scheduling 0
		.amdhsa_exception_fp_ieee_invalid_op 0
		.amdhsa_exception_fp_denorm_src 0
		.amdhsa_exception_fp_ieee_div_zero 0
		.amdhsa_exception_fp_ieee_overflow 0
		.amdhsa_exception_fp_ieee_underflow 0
		.amdhsa_exception_fp_ieee_inexact 0
		.amdhsa_exception_int_div_zero 0
	.end_amdhsa_kernel
	.text
.Lfunc_end0:
	.size	fft_rtc_fwd_len3200_factors_10_10_4_4_2_wgs_160_tpt_160_halfLds_sp_op_CI_CI_sbrr_dirReg, .Lfunc_end0-fft_rtc_fwd_len3200_factors_10_10_4_4_2_wgs_160_tpt_160_halfLds_sp_op_CI_CI_sbrr_dirReg
                                        ; -- End function
	.section	.AMDGPU.csdata,"",@progbits
; Kernel info:
; codeLenInByte = 15336
; NumSgprs: 45
; NumVgprs: 93
; ScratchSize: 0
; MemoryBound: 0
; FloatMode: 240
; IeeeMode: 1
; LDSByteSize: 0 bytes/workgroup (compile time only)
; SGPRBlocks: 5
; VGPRBlocks: 11
; NumSGPRsForWavesPerEU: 45
; NumVGPRsForWavesPerEU: 93
; Occupancy: 15
; WaveLimiterHint : 1
; COMPUTE_PGM_RSRC2:SCRATCH_EN: 0
; COMPUTE_PGM_RSRC2:USER_SGPR: 2
; COMPUTE_PGM_RSRC2:TRAP_HANDLER: 0
; COMPUTE_PGM_RSRC2:TGID_X_EN: 1
; COMPUTE_PGM_RSRC2:TGID_Y_EN: 0
; COMPUTE_PGM_RSRC2:TGID_Z_EN: 0
; COMPUTE_PGM_RSRC2:TIDIG_COMP_CNT: 0
	.text
	.p2alignl 7, 3214868480
	.fill 96, 4, 3214868480
	.type	__hip_cuid_85f85ac6123ef50c,@object ; @__hip_cuid_85f85ac6123ef50c
	.section	.bss,"aw",@nobits
	.globl	__hip_cuid_85f85ac6123ef50c
__hip_cuid_85f85ac6123ef50c:
	.byte	0                               ; 0x0
	.size	__hip_cuid_85f85ac6123ef50c, 1

	.ident	"AMD clang version 19.0.0git (https://github.com/RadeonOpenCompute/llvm-project roc-6.4.0 25133 c7fe45cf4b819c5991fe208aaa96edf142730f1d)"
	.section	".note.GNU-stack","",@progbits
	.addrsig
	.addrsig_sym __hip_cuid_85f85ac6123ef50c
	.amdgpu_metadata
---
amdhsa.kernels:
  - .args:
      - .actual_access:  read_only
        .address_space:  global
        .offset:         0
        .size:           8
        .value_kind:     global_buffer
      - .offset:         8
        .size:           8
        .value_kind:     by_value
      - .actual_access:  read_only
        .address_space:  global
        .offset:         16
        .size:           8
        .value_kind:     global_buffer
      - .actual_access:  read_only
        .address_space:  global
        .offset:         24
        .size:           8
        .value_kind:     global_buffer
      - .actual_access:  read_only
        .address_space:  global
        .offset:         32
        .size:           8
        .value_kind:     global_buffer
      - .offset:         40
        .size:           8
        .value_kind:     by_value
      - .actual_access:  read_only
        .address_space:  global
        .offset:         48
        .size:           8
        .value_kind:     global_buffer
      - .actual_access:  read_only
        .address_space:  global
        .offset:         56
        .size:           8
        .value_kind:     global_buffer
      - .offset:         64
        .size:           4
        .value_kind:     by_value
      - .actual_access:  read_only
        .address_space:  global
        .offset:         72
        .size:           8
        .value_kind:     global_buffer
      - .actual_access:  read_only
        .address_space:  global
        .offset:         80
        .size:           8
        .value_kind:     global_buffer
      - .actual_access:  read_only
        .address_space:  global
        .offset:         88
        .size:           8
        .value_kind:     global_buffer
      - .actual_access:  write_only
        .address_space:  global
        .offset:         96
        .size:           8
        .value_kind:     global_buffer
    .group_segment_fixed_size: 0
    .kernarg_segment_align: 8
    .kernarg_segment_size: 104
    .language:       OpenCL C
    .language_version:
      - 2
      - 0
    .max_flat_workgroup_size: 160
    .name:           fft_rtc_fwd_len3200_factors_10_10_4_4_2_wgs_160_tpt_160_halfLds_sp_op_CI_CI_sbrr_dirReg
    .private_segment_fixed_size: 0
    .sgpr_count:     45
    .sgpr_spill_count: 0
    .symbol:         fft_rtc_fwd_len3200_factors_10_10_4_4_2_wgs_160_tpt_160_halfLds_sp_op_CI_CI_sbrr_dirReg.kd
    .uniform_work_group_size: 1
    .uses_dynamic_stack: false
    .vgpr_count:     93
    .vgpr_spill_count: 0
    .wavefront_size: 32
    .workgroup_processor_mode: 1
amdhsa.target:   amdgcn-amd-amdhsa--gfx1201
amdhsa.version:
  - 1
  - 2
...

	.end_amdgpu_metadata
